;; amdgpu-corpus repo=zjin-lcf/HeCBench kind=compiled arch=gfx950 opt=O3
	.amdgcn_target "amdgcn-amd-amdhsa--gfx950"
	.amdhsa_code_object_version 6
	.section	.text._Z20test_interval_newtonIdEvP12interval_gpuIT_EPiS2_i,"axG",@progbits,_Z20test_interval_newtonIdEvP12interval_gpuIT_EPiS2_i,comdat
	.protected	_Z20test_interval_newtonIdEvP12interval_gpuIT_EPiS2_i ; -- Begin function _Z20test_interval_newtonIdEvP12interval_gpuIT_EPiS2_i
	.globl	_Z20test_interval_newtonIdEvP12interval_gpuIT_EPiS2_i
	.p2align	8
	.type	_Z20test_interval_newtonIdEvP12interval_gpuIT_EPiS2_i,@function
_Z20test_interval_newtonIdEvP12interval_gpuIT_EPiS2_i: ; @_Z20test_interval_newtonIdEvP12interval_gpuIT_EPiS2_i
; %bb.0:
	s_load_dword s33, s[0:1], 0x20
	s_load_dwordx8 s[8:15], s[0:1], 0x0
	v_lshl_add_u32 v12, s2, 6, v0
	s_mov_b64 s[4:5], 0
	s_waitcnt lgkmcnt(0)
	s_cmp_lt_i32 s33, 1
	s_cbranch_scc1 .LBB0_93
; %bb.1:
	s_cmp_eq_u32 s33, 1
	s_cbranch_scc0 .LBB0_94
; %bb.2:
	s_mov_b32 s0, 0
	v_cvt_f64_i32_e32 v[0:1], v12
	s_mov_b32 s1, 0xbef00000
	s_mov_b32 s16, 0
	s_brev_b32 s18, 5
	s_brev_b32 s20, 1
	v_ldexp_f64 v[8:9], -v[0:1], -16
	v_fma_f64 v[10:11], v[0:1], s[0:1], -2.0
	v_mov_b32_e32 v15, -1
	s_mov_b64 s[6:7], 0
	v_mov_b64_e32 v[0:1], s[12:13]
	v_mov_b64_e32 v[2:3], s[14:15]
	s_mov_b32 s17, 0xfff00000
	s_mov_b32 s19, 0x3eb0c6f7
	;; [unrolled: 1-line block ×4, first 2 shown]
	v_mov_b32_e32 v32, 0x7ff80000
	v_mov_b32_e32 v33, 0
	s_mov_b64 s[22:23], 0
	v_mov_b32_e32 v13, v12
	v_mov_b32_e32 v14, v12
	s_branch .LBB0_4
.LBB0_3:                                ;   in Loop: Header=BB0_4 Depth=1
	s_or_b64 exec, exec, s[0:1]
	s_and_b64 s[0:1], exec, s[2:3]
	s_or_b64 s[6:7], s[0:1], s[6:7]
	s_mov_b64 s[22:23], 0
	s_andn2_b64 exec, exec, s[6:7]
	s_cbranch_execz .LBB0_95
.LBB0_4:                                ; =>This Loop Header: Depth=1
                                        ;     Child Loop BB0_6 Depth 2
	v_mov_b32_e32 v34, v15
	s_mov_b64 s[26:27], 0
	s_waitcnt vmcnt(0)
	v_mov_b64_e32 v[18:19], v[0:1]
	v_mov_b64_e32 v[16:17], v[2:3]
                                        ; implicit-def: $sgpr24_sgpr25
                                        ; implicit-def: $sgpr28_sgpr29
	s_branch .LBB0_6
.LBB0_5:                                ;   in Loop: Header=BB0_6 Depth=2
	s_or_b64 exec, exec, s[30:31]
	s_and_b64 s[0:1], exec, s[0:1]
	s_or_b64 s[26:27], s[0:1], s[26:27]
	s_andn2_b64 s[0:1], s[24:25], exec
	s_and_b64 s[2:3], s[28:29], exec
	s_or_b64 s[24:25], s[0:1], s[2:3]
	s_andn2_b64 exec, exec, s[26:27]
	s_cbranch_execz .LBB0_88
.LBB0_6:                                ;   Parent Loop BB0_4 Depth=1
                                        ; =>  This Inner Loop Header: Depth=2
	v_add_f64 v[22:23], v[18:19], v[16:17]
	v_fma_f64 v[2:3], v[22:23], 0.5, -1.0
	v_mul_f64 v[0:1], v[2:3], v[2:3]
	v_cmp_o_f64_e32 vcc, v[2:3], v[2:3]
	v_add_f64 v[2:3], v[18:19], v[18:19]
	v_add_f64 v[4:5], v[16:17], v[16:17]
	v_min_f64 v[6:7], v[2:3], v[4:5]
	v_max_f64 v[4:5], v[2:3], v[4:5]
	v_add_f64 v[2:3], v[10:11], v[6:7]
	v_add_f64 v[26:27], v[10:11], v[4:5]
	v_mul_f64 v[20:21], v[22:23], 0.5
	v_cndmask_b32_e32 v25, 0, v1, vcc
	v_cndmask_b32_e32 v24, 0, v0, vcc
	v_cmp_ge_f64_e32 vcc, 0, v[2:3]
	v_cmp_le_f64_e64 s[0:1], 0, v[26:27]
	v_fmac_f64_e32 v[24:25], v[8:9], v[20:21]
	v_fmac_f64_e32 v[0:1], v[8:9], v[20:21]
	s_and_b64 s[0:1], vcc, s[0:1]
                                        ; implicit-def: $sgpr2_sgpr3
                                        ; implicit-def: $vgpr30_vgpr31
                                        ; implicit-def: $vgpr28_vgpr29
	s_and_saveexec_b64 s[30:31], s[0:1]
	s_xor_b64 s[30:31], exec, s[30:31]
	s_cbranch_execz .LBB0_42
; %bb.7:                                ;   in Loop: Header=BB0_6 Depth=2
	v_cmp_eq_f64_e64 s[2:3], 0, v[2:3]
	v_cmp_neq_f64_e32 vcc, 0, v[26:27]
	v_cmp_eq_f64_e64 s[0:1], 0, v[26:27]
                                        ; implicit-def: $vgpr30_vgpr31
                                        ; implicit-def: $vgpr28_vgpr29
	s_and_saveexec_b64 s[34:35], s[2:3]
	s_xor_b64 s[34:35], exec, s[34:35]
	s_cbranch_execz .LBB0_19
; %bb.8:                                ;   in Loop: Header=BB0_6 Depth=2
	v_mov_b32_e32 v30, 0
	v_mov_b32_e32 v28, 0
	;; [unrolled: 1-line block ×4, first 2 shown]
	s_and_saveexec_b64 s[36:37], vcc
	s_cbranch_execz .LBB0_18
; %bb.9:                                ;   in Loop: Header=BB0_6 Depth=2
	v_cmp_neq_f64_e32 vcc, 0, v[24:25]
	v_cmp_neq_f64_e64 s[2:3], 0, v[0:1]
	s_or_b64 s[38:39], vcc, s[2:3]
	v_mov_b64_e32 v[30:31], v[24:25]
	v_mov_b64_e32 v[28:29], v[0:1]
	s_and_saveexec_b64 s[2:3], s[38:39]
	s_cbranch_execz .LBB0_17
; %bb.10:                               ;   in Loop: Header=BB0_6 Depth=2
	v_cmp_ngt_f64_e32 vcc, 0, v[0:1]
                                        ; implicit-def: $vgpr30_vgpr31
	s_and_saveexec_b64 s[38:39], vcc
	s_xor_b64 s[38:39], exec, s[38:39]
	s_cbranch_execz .LBB0_14
; %bb.11:                               ;   in Loop: Header=BB0_6 Depth=2
	v_mov_b32_e32 v30, 0
	v_cmp_ngt_f64_e32 vcc, 0, v[24:25]
	v_mov_b32_e32 v31, 0xfff00000
	s_and_saveexec_b64 s[40:41], vcc
	s_cbranch_execz .LBB0_13
; %bb.12:                               ;   in Loop: Header=BB0_6 Depth=2
	v_div_scale_f64 v[4:5], s[44:45], v[26:27], v[26:27], v[24:25]
	v_rcp_f64_e32 v[6:7], v[4:5]
	v_div_scale_f64 v[28:29], vcc, v[24:25], v[26:27], v[24:25]
	v_fma_f64 v[30:31], -v[4:5], v[6:7], 1.0
	v_fmac_f64_e32 v[6:7], v[6:7], v[30:31]
	v_fma_f64 v[30:31], -v[4:5], v[6:7], 1.0
	v_fmac_f64_e32 v[6:7], v[6:7], v[30:31]
	v_mul_f64 v[30:31], v[28:29], v[6:7]
	v_fma_f64 v[4:5], -v[4:5], v[30:31], v[28:29]
	v_div_fmas_f64 v[4:5], v[4:5], v[6:7], v[30:31]
	v_div_fixup_f64 v[30:31], v[4:5], v[26:27], v[24:25]
.LBB0_13:                               ;   in Loop: Header=BB0_6 Depth=2
	s_or_b64 exec, exec, s[40:41]
.LBB0_14:                               ;   in Loop: Header=BB0_6 Depth=2
	s_or_saveexec_b64 s[38:39], s[38:39]
	v_mov_b32_e32 v28, 0
	v_mov_b32_e32 v29, 0x7ff00000
	s_xor_b64 exec, exec, s[38:39]
	s_cbranch_execz .LBB0_16
; %bb.15:                               ;   in Loop: Header=BB0_6 Depth=2
	v_div_scale_f64 v[4:5], s[40:41], v[26:27], v[26:27], v[0:1]
	v_rcp_f64_e32 v[6:7], v[4:5]
	v_div_scale_f64 v[28:29], vcc, v[0:1], v[26:27], v[0:1]
	v_fma_f64 v[30:31], -v[4:5], v[6:7], 1.0
	v_fmac_f64_e32 v[6:7], v[6:7], v[30:31]
	v_fma_f64 v[30:31], -v[4:5], v[6:7], 1.0
	v_fmac_f64_e32 v[6:7], v[6:7], v[30:31]
	v_mul_f64 v[30:31], v[28:29], v[6:7]
	v_fma_f64 v[4:5], -v[4:5], v[30:31], v[28:29]
	v_div_fmas_f64 v[4:5], v[4:5], v[6:7], v[30:31]
	v_mov_b32_e32 v30, 0
	v_div_fixup_f64 v[28:29], v[4:5], v[26:27], v[0:1]
	v_mov_b32_e32 v31, 0xfff00000
.LBB0_16:                               ;   in Loop: Header=BB0_6 Depth=2
	s_or_b64 exec, exec, s[38:39]
.LBB0_17:                               ;   in Loop: Header=BB0_6 Depth=2
	s_or_b64 exec, exec, s[2:3]
.LBB0_18:                               ;   in Loop: Header=BB0_6 Depth=2
	s_or_b64 exec, exec, s[36:37]
.LBB0_19:                               ;   in Loop: Header=BB0_6 Depth=2
	s_or_saveexec_b64 s[34:35], s[34:35]
	s_mov_b64 s[2:3], 0
	s_xor_b64 exec, exec, s[34:35]
	s_cbranch_execz .LBB0_41
; %bb.20:                               ;   in Loop: Header=BB0_6 Depth=2
	v_cmp_neq_f64_e32 vcc, 0, v[24:25]
	v_cmp_neq_f64_e64 s[2:3], 0, v[0:1]
	s_or_b64 s[2:3], vcc, s[2:3]
                                        ; implicit-def: $vgpr30_vgpr31
                                        ; implicit-def: $vgpr28_vgpr29
	s_and_saveexec_b64 s[36:37], s[0:1]
	s_xor_b64 s[0:1], exec, s[36:37]
	s_cbranch_execz .LBB0_30
; %bb.21:                               ;   in Loop: Header=BB0_6 Depth=2
	v_mov_b64_e32 v[30:31], v[24:25]
	v_mov_b64_e32 v[28:29], v[0:1]
	s_and_saveexec_b64 s[36:37], s[2:3]
	s_cbranch_execz .LBB0_29
; %bb.22:                               ;   in Loop: Header=BB0_6 Depth=2
	v_cmp_ngt_f64_e32 vcc, 0, v[0:1]
                                        ; implicit-def: $vgpr28_vgpr29
	s_and_saveexec_b64 s[38:39], vcc
	s_xor_b64 s[38:39], exec, s[38:39]
	s_cbranch_execz .LBB0_26
; %bb.23:                               ;   in Loop: Header=BB0_6 Depth=2
	v_mov_b32_e32 v28, 0
	v_cmp_ngt_f64_e32 vcc, 0, v[24:25]
	v_mov_b32_e32 v29, 0x7ff00000
	s_and_saveexec_b64 s[40:41], vcc
	s_cbranch_execz .LBB0_25
; %bb.24:                               ;   in Loop: Header=BB0_6 Depth=2
	v_div_scale_f64 v[4:5], s[44:45], v[2:3], v[2:3], v[24:25]
	v_rcp_f64_e32 v[6:7], v[4:5]
	v_div_scale_f64 v[28:29], vcc, v[24:25], v[2:3], v[24:25]
	v_fma_f64 v[30:31], -v[4:5], v[6:7], 1.0
	v_fmac_f64_e32 v[6:7], v[6:7], v[30:31]
	v_fma_f64 v[30:31], -v[4:5], v[6:7], 1.0
	v_fmac_f64_e32 v[6:7], v[6:7], v[30:31]
	v_mul_f64 v[30:31], v[28:29], v[6:7]
	v_fma_f64 v[4:5], -v[4:5], v[30:31], v[28:29]
	v_div_fmas_f64 v[4:5], v[4:5], v[6:7], v[30:31]
	v_div_fixup_f64 v[28:29], v[4:5], v[2:3], v[24:25]
.LBB0_25:                               ;   in Loop: Header=BB0_6 Depth=2
	s_or_b64 exec, exec, s[40:41]
.LBB0_26:                               ;   in Loop: Header=BB0_6 Depth=2
	s_or_saveexec_b64 s[38:39], s[38:39]
	v_mov_b32_e32 v30, 0
	v_mov_b32_e32 v31, 0xfff00000
	s_xor_b64 exec, exec, s[38:39]
	s_cbranch_execz .LBB0_28
; %bb.27:                               ;   in Loop: Header=BB0_6 Depth=2
	v_div_scale_f64 v[4:5], s[40:41], v[2:3], v[2:3], v[0:1]
	v_rcp_f64_e32 v[6:7], v[4:5]
	v_div_scale_f64 v[28:29], vcc, v[0:1], v[2:3], v[0:1]
	v_fma_f64 v[30:31], -v[4:5], v[6:7], 1.0
	v_fmac_f64_e32 v[6:7], v[6:7], v[30:31]
	v_fma_f64 v[30:31], -v[4:5], v[6:7], 1.0
	v_fmac_f64_e32 v[6:7], v[6:7], v[30:31]
	v_mul_f64 v[30:31], v[28:29], v[6:7]
	v_fma_f64 v[4:5], -v[4:5], v[30:31], v[28:29]
	v_div_fmas_f64 v[4:5], v[4:5], v[6:7], v[30:31]
	v_mov_b32_e32 v28, 0
	v_div_fixup_f64 v[30:31], v[4:5], v[2:3], v[0:1]
	v_mov_b32_e32 v29, 0x7ff00000
.LBB0_28:                               ;   in Loop: Header=BB0_6 Depth=2
	s_or_b64 exec, exec, s[38:39]
.LBB0_29:                               ;   in Loop: Header=BB0_6 Depth=2
	s_or_b64 exec, exec, s[36:37]
.LBB0_30:                               ;   in Loop: Header=BB0_6 Depth=2
	s_or_saveexec_b64 s[0:1], s[0:1]
	s_mov_b64 s[36:37], 0
	s_xor_b64 exec, exec, s[0:1]
	s_cbranch_execz .LBB0_40
; %bb.31:                               ;   in Loop: Header=BB0_6 Depth=2
	s_mov_b64 s[38:39], 0
	v_mov_b64_e32 v[30:31], v[24:25]
	v_mov_b64_e32 v[28:29], v[0:1]
	s_and_saveexec_b64 s[36:37], s[2:3]
	s_cbranch_execz .LBB0_39
; %bb.32:                               ;   in Loop: Header=BB0_6 Depth=2
	v_cmp_ngt_f64_e32 vcc, 0, v[0:1]
                                        ; implicit-def: $sgpr2_sgpr3
                                        ; implicit-def: $vgpr28_vgpr29
	s_and_saveexec_b64 s[38:39], vcc
	s_xor_b64 s[38:39], exec, s[38:39]
	s_cbranch_execz .LBB0_36
; %bb.33:                               ;   in Loop: Header=BB0_6 Depth=2
	v_mov_b32_e32 v28, 0
	v_cmp_ngt_f64_e32 vcc, 0, v[24:25]
	s_mov_b64 s[2:3], 0
	v_mov_b32_e32 v29, 0x7ff00000
	s_and_saveexec_b64 s[40:41], vcc
	s_cbranch_execz .LBB0_35
; %bb.34:                               ;   in Loop: Header=BB0_6 Depth=2
	v_div_scale_f64 v[4:5], s[44:45], v[2:3], v[2:3], v[24:25]
	v_rcp_f64_e32 v[6:7], v[4:5]
	s_mov_b64 s[2:3], exec
	v_fma_f64 v[28:29], -v[4:5], v[6:7], 1.0
	v_fmac_f64_e32 v[6:7], v[6:7], v[28:29]
	v_fma_f64 v[28:29], -v[4:5], v[6:7], 1.0
	v_fmac_f64_e32 v[6:7], v[6:7], v[28:29]
	v_div_scale_f64 v[28:29], vcc, v[24:25], v[2:3], v[24:25]
	v_mul_f64 v[30:31], v[28:29], v[6:7]
	v_fma_f64 v[4:5], -v[4:5], v[30:31], v[28:29]
	s_nop 1
	v_div_fmas_f64 v[4:5], v[4:5], v[6:7], v[30:31]
	v_div_fixup_f64 v[28:29], v[4:5], v[2:3], v[24:25]
.LBB0_35:                               ;   in Loop: Header=BB0_6 Depth=2
	s_or_b64 exec, exec, s[40:41]
.LBB0_36:                               ;   in Loop: Header=BB0_6 Depth=2
	s_andn2_saveexec_b64 s[38:39], s[38:39]
	s_cbranch_execz .LBB0_38
; %bb.37:                               ;   in Loop: Header=BB0_6 Depth=2
	v_div_scale_f64 v[4:5], s[40:41], v[26:27], v[26:27], v[0:1]
	v_rcp_f64_e32 v[6:7], v[4:5]
	v_div_scale_f64 v[28:29], vcc, v[0:1], v[26:27], v[0:1]
	s_or_b64 s[2:3], s[2:3], exec
	v_fma_f64 v[30:31], -v[4:5], v[6:7], 1.0
	v_fmac_f64_e32 v[6:7], v[6:7], v[30:31]
	v_fma_f64 v[30:31], -v[4:5], v[6:7], 1.0
	v_fmac_f64_e32 v[6:7], v[6:7], v[30:31]
	v_mul_f64 v[30:31], v[28:29], v[6:7]
	v_fma_f64 v[4:5], -v[4:5], v[30:31], v[28:29]
	v_div_fmas_f64 v[4:5], v[4:5], v[6:7], v[30:31]
	v_div_fixup_f64 v[28:29], v[4:5], v[26:27], v[0:1]
.LBB0_38:                               ;   in Loop: Header=BB0_6 Depth=2
	s_or_b64 exec, exec, s[38:39]
	v_mov_b32_e32 v30, 0
	v_mov_b32_e32 v31, 0xfff00000
	s_and_b64 s[38:39], s[2:3], exec
.LBB0_39:                               ;   in Loop: Header=BB0_6 Depth=2
	s_or_b64 exec, exec, s[36:37]
	s_and_b64 s[36:37], s[38:39], exec
.LBB0_40:                               ;   in Loop: Header=BB0_6 Depth=2
	s_or_b64 exec, exec, s[0:1]
	s_and_b64 s[2:3], s[36:37], exec
.LBB0_41:                               ;   in Loop: Header=BB0_6 Depth=2
	s_or_b64 exec, exec, s[34:35]
.LBB0_42:                               ;   in Loop: Header=BB0_6 Depth=2
	s_andn2_saveexec_b64 s[30:31], s[30:31]
	s_cbranch_execz .LBB0_48
; %bb.43:                               ;   in Loop: Header=BB0_6 Depth=2
	v_cmp_gt_f64_e32 vcc, 0, v[26:27]
	v_cmp_ngt_f64_e64 s[0:1], 0, v[0:1]
	v_mov_b64_e32 v[4:5], v[26:27]
	v_mov_b64_e32 v[6:7], v[2:3]
	s_and_saveexec_b64 s[34:35], s[0:1]
	s_cbranch_execz .LBB0_47
; %bb.44:                               ;   in Loop: Header=BB0_6 Depth=2
	v_cmp_gt_f64_e64 s[0:1], 0, v[24:25]
	v_mov_b64_e32 v[6:7], v[26:27]
	v_mov_b64_e32 v[4:5], v[2:3]
	s_and_saveexec_b64 s[36:37], s[0:1]
; %bb.45:                               ;   in Loop: Header=BB0_6 Depth=2
	v_cndmask_b32_e32 v7, v3, v27, vcc
	v_cndmask_b32_e32 v6, v2, v26, vcc
	v_mov_b64_e32 v[4:5], v[6:7]
; %bb.46:                               ;   in Loop: Header=BB0_6 Depth=2
	s_or_b64 exec, exec, s[36:37]
.LBB0_47:                               ;   in Loop: Header=BB0_6 Depth=2
	s_or_b64 exec, exec, s[34:35]
	v_cndmask_b32_e32 v29, v25, v1, vcc
	v_cndmask_b32_e32 v28, v24, v0, vcc
	v_div_scale_f64 v[30:31], s[0:1], v[6:7], v[6:7], v[28:29]
	v_rcp_f64_e32 v[36:37], v[30:31]
	v_cndmask_b32_e32 v39, v1, v25, vcc
	v_cndmask_b32_e32 v38, v0, v24, vcc
	s_andn2_b64 s[2:3], s[2:3], exec
	v_fma_f64 v[40:41], -v[30:31], v[36:37], 1.0
	v_fmac_f64_e32 v[36:37], v[36:37], v[40:41]
	v_fma_f64 v[40:41], -v[30:31], v[36:37], 1.0
	v_fmac_f64_e32 v[36:37], v[36:37], v[40:41]
	v_div_scale_f64 v[40:41], vcc, v[28:29], v[6:7], v[28:29]
	v_mul_f64 v[42:43], v[40:41], v[36:37]
	v_fma_f64 v[30:31], -v[30:31], v[42:43], v[40:41]
	v_div_scale_f64 v[40:41], s[0:1], v[4:5], v[4:5], v[38:39]
	v_rcp_f64_e32 v[44:45], v[40:41]
	v_div_fmas_f64 v[30:31], v[30:31], v[36:37], v[42:43]
	v_div_fixup_f64 v[30:31], v[30:31], v[6:7], v[28:29]
	v_fma_f64 v[6:7], -v[40:41], v[44:45], 1.0
	v_fmac_f64_e32 v[44:45], v[44:45], v[6:7]
	v_fma_f64 v[6:7], -v[40:41], v[44:45], 1.0
	v_fmac_f64_e32 v[44:45], v[44:45], v[6:7]
	v_div_scale_f64 v[6:7], vcc, v[38:39], v[4:5], v[38:39]
	v_mul_f64 v[28:29], v[6:7], v[44:45]
	v_fma_f64 v[6:7], -v[40:41], v[28:29], v[6:7]
	s_nop 1
	v_div_fmas_f64 v[6:7], v[6:7], v[44:45], v[28:29]
	v_div_fixup_f64 v[28:29], v[6:7], v[4:5], v[38:39]
.LBB0_48:                               ;   in Loop: Header=BB0_6 Depth=2
	s_or_b64 exec, exec, s[30:31]
	v_mov_b32_e32 v6, 0
	v_mov_b32_e32 v4, 0
	;; [unrolled: 1-line block ×4, first 2 shown]
	s_and_saveexec_b64 s[0:1], s[2:3]
	s_cbranch_execz .LBB0_54
; %bb.49:                               ;   in Loop: Header=BB0_6 Depth=2
	v_cmp_ngt_f64_e32 vcc, 0, v[0:1]
                                        ; implicit-def: $vgpr4_vgpr5
	s_and_saveexec_b64 s[30:31], vcc
	s_xor_b64 s[30:31], exec, s[30:31]
	s_cbranch_execz .LBB0_51
; %bb.50:                               ;   in Loop: Header=BB0_6 Depth=2
	v_div_scale_f64 v[0:1], s[34:35], v[26:27], v[26:27], v[24:25]
	v_rcp_f64_e32 v[2:3], v[0:1]
	v_div_scale_f64 v[4:5], vcc, v[24:25], v[26:27], v[24:25]
	v_fma_f64 v[6:7], -v[0:1], v[2:3], 1.0
	v_fmac_f64_e32 v[2:3], v[2:3], v[6:7]
	v_fma_f64 v[6:7], -v[0:1], v[2:3], 1.0
	v_fmac_f64_e32 v[2:3], v[2:3], v[6:7]
	v_mul_f64 v[6:7], v[4:5], v[2:3]
	v_fma_f64 v[0:1], -v[0:1], v[6:7], v[4:5]
	v_div_fmas_f64 v[0:1], v[0:1], v[2:3], v[6:7]
	v_div_fixup_f64 v[4:5], v[0:1], v[26:27], v[24:25]
                                        ; implicit-def: $vgpr2_vgpr3
                                        ; implicit-def: $vgpr0_vgpr1
.LBB0_51:                               ;   in Loop: Header=BB0_6 Depth=2
	s_andn2_saveexec_b64 s[30:31], s[30:31]
	s_cbranch_execz .LBB0_53
; %bb.52:                               ;   in Loop: Header=BB0_6 Depth=2
	v_div_scale_f64 v[4:5], s[34:35], v[2:3], v[2:3], v[0:1]
	v_rcp_f64_e32 v[6:7], v[4:5]
	v_div_scale_f64 v[24:25], vcc, v[0:1], v[2:3], v[0:1]
	v_fma_f64 v[26:27], -v[4:5], v[6:7], 1.0
	v_fmac_f64_e32 v[6:7], v[6:7], v[26:27]
	v_fma_f64 v[26:27], -v[4:5], v[6:7], 1.0
	v_fmac_f64_e32 v[6:7], v[6:7], v[26:27]
	v_mul_f64 v[26:27], v[24:25], v[6:7]
	v_fma_f64 v[4:5], -v[4:5], v[26:27], v[24:25]
	v_div_fmas_f64 v[4:5], v[4:5], v[6:7], v[26:27]
	v_div_fixup_f64 v[4:5], v[4:5], v[2:3], v[0:1]
.LBB0_53:                               ;   in Loop: Header=BB0_6 Depth=2
	s_or_b64 exec, exec, s[30:31]
	v_add_f64 v[0:1], v[20:21], s[16:17]
	v_add_f64 v[2:3], v[20:21], -v[4:5]
	v_max_f64 v[4:5], v[18:19], v[18:19]
	v_max_f64 v[0:1], v[0:1], v[4:5]
	;; [unrolled: 1-line block ×3, first 2 shown]
	v_min_f64 v[2:3], v[2:3], v[4:5]
	v_cmp_nle_f64_e32 vcc, v[0:1], v[2:3]
	s_nop 1
	v_cndmask_b32_e32 v5, v1, v32, vcc
	v_cndmask_b32_e64 v4, v0, 0, vcc
	v_cndmask_b32_e32 v7, v3, v32, vcc
	v_cndmask_b32_e64 v6, v2, 0, vcc
.LBB0_54:                               ;   in Loop: Header=BB0_6 Depth=2
	s_or_b64 exec, exec, s[0:1]
	v_add_f64 v[0:1], v[20:21], -v[28:29]
	v_max_f64 v[24:25], v[18:19], v[18:19]
	v_add_f64 v[2:3], v[20:21], -v[30:31]
	v_max_f64 v[0:1], v[0:1], v[24:25]
	v_max_f64 v[24:25], v[16:17], v[16:17]
	v_min_f64 v[2:3], v[2:3], v[24:25]
	v_cmp_nle_f64_e32 vcc, v[0:1], v[2:3]
	s_nop 1
	v_cndmask_b32_e32 v1, v1, v32, vcc
	v_cndmask_b32_e64 v0, v0, 0, vcc
	v_cndmask_b32_e32 v3, v3, v32, vcc
	v_cndmask_b32_e64 v2, v2, 0, vcc
	v_add_f64 v[24:25], v[0:1], v[2:3]
	v_cmp_o_f64_e32 vcc, v[24:25], v[24:25]
	s_and_saveexec_b64 s[30:31], vcc
	s_cbranch_execz .LBB0_66
; %bb.55:                               ;   in Loop: Header=BB0_6 Depth=2
	v_mul_f64 v[24:25], v[24:25], 0.5
	v_add_f64 v[26:27], v[2:3], -v[0:1]
	v_mul_f64 v[24:25], |v[24:25]|, s[18:19]
	v_cmp_nle_f64_e32 vcc, v[26:27], v[24:25]
	s_mov_b64 s[36:37], -1
	s_and_saveexec_b64 s[34:35], vcc
	s_cbranch_execz .LBB0_63
; %bb.56:                               ;   in Loop: Header=BB0_6 Depth=2
	v_add_f64 v[30:31], v[0:1], -1.0
	v_add_f64 v[28:29], v[2:3], -1.0
	v_cmp_le_f64_e32 vcc, 0, v[30:31]
	v_mul_f64 v[24:25], v[30:31], v[30:31]
	v_mul_f64 v[26:27], v[28:29], v[28:29]
	s_and_saveexec_b64 s[0:1], vcc
	s_xor_b64 s[0:1], exec, s[0:1]
; %bb.57:                               ;   in Loop: Header=BB0_6 Depth=2
	v_mul_f64 v[26:27], v[30:31], v[30:31]
	v_mul_f64 v[24:25], v[28:29], v[28:29]
                                        ; implicit-def: $vgpr28_vgpr29
; %bb.58:                               ;   in Loop: Header=BB0_6 Depth=2
	s_andn2_saveexec_b64 s[0:1], s[0:1]
	s_cbranch_execz .LBB0_62
; %bb.59:                               ;   in Loop: Header=BB0_6 Depth=2
	v_cmp_ge_f64_e32 vcc, 0, v[28:29]
	s_and_saveexec_b64 s[36:37], vcc
	s_xor_b64 s[36:37], exec, s[36:37]
	s_andn2_saveexec_b64 s[36:37], s[36:37]
; %bb.60:                               ;   in Loop: Header=BB0_6 Depth=2
	v_max_f64 v[24:25], v[24:25], v[26:27]
	v_mov_b64_e32 v[26:27], 0
; %bb.61:                               ;   in Loop: Header=BB0_6 Depth=2
	s_or_b64 exec, exec, s[36:37]
.LBB0_62:                               ;   in Loop: Header=BB0_6 Depth=2
	s_or_b64 exec, exec, s[0:1]
	v_mul_f64 v[28:29], v[8:9], v[0:1]
	v_mul_f64 v[30:31], v[8:9], v[2:3]
	v_min_f64 v[36:37], v[28:29], v[30:31]
	v_max_f64 v[28:29], v[28:29], v[30:31]
	v_add_f64 v[26:27], v[36:37], v[26:27]
	v_add_f64 v[24:25], v[28:29], v[24:25]
	;; [unrolled: 1-line block ×3, first 2 shown]
	v_add_f64 v[24:25], v[24:25], -v[26:27]
	v_cmp_u_f64_e32 vcc, v[28:29], v[28:29]
	v_cmp_ge_f64_e64 s[0:1], s[18:19], v[24:25]
	s_or_b64 s[0:1], vcc, s[0:1]
	s_orn2_b64 s[36:37], s[0:1], exec
.LBB0_63:                               ;   in Loop: Header=BB0_6 Depth=2
	s_or_b64 exec, exec, s[34:35]
	s_and_saveexec_b64 s[0:1], s[36:37]
	s_cbranch_execz .LBB0_65
; %bb.64:                               ;   in Loop: Header=BB0_6 Depth=2
	v_ashrrev_i32_e32 v15, 31, v14
	v_lshl_add_u64 v[24:25], v[14:15], 4, s[8:9]
	global_store_dwordx4 v[24:25], v[0:3], off
	v_add_u32_e32 v14, 0x10000, v14
	v_mov_b32_e32 v13, v14
	v_mov_b32_e32 v2, 0
	;; [unrolled: 1-line block ×3, first 2 shown]
	v_mov_b64_e32 v[0:1], v[2:3]
.LBB0_65:                               ;   in Loop: Header=BB0_6 Depth=2
	s_or_b64 exec, exec, s[0:1]
.LBB0_66:                               ;   in Loop: Header=BB0_6 Depth=2
	s_or_b64 exec, exec, s[30:31]
	s_and_saveexec_b64 s[30:31], s[2:3]
	s_cbranch_execz .LBB0_80
; %bb.67:                               ;   in Loop: Header=BB0_6 Depth=2
	v_add_f64 v[24:25], v[4:5], v[6:7]
	v_cmp_o_f64_e32 vcc, v[24:25], v[24:25]
	s_and_saveexec_b64 s[34:35], vcc
	s_cbranch_execz .LBB0_79
; %bb.68:                               ;   in Loop: Header=BB0_6 Depth=2
	v_mul_f64 v[24:25], v[24:25], 0.5
	v_add_f64 v[26:27], v[6:7], -v[4:5]
	v_mul_f64 v[24:25], |v[24:25]|, s[18:19]
	v_cmp_nle_f64_e32 vcc, v[26:27], v[24:25]
	s_mov_b64 s[38:39], -1
	s_and_saveexec_b64 s[36:37], vcc
	s_cbranch_execz .LBB0_76
; %bb.69:                               ;   in Loop: Header=BB0_6 Depth=2
	v_add_f64 v[30:31], v[4:5], -1.0
	v_add_f64 v[28:29], v[6:7], -1.0
	v_cmp_le_f64_e32 vcc, 0, v[30:31]
	v_mul_f64 v[24:25], v[30:31], v[30:31]
	v_mul_f64 v[26:27], v[28:29], v[28:29]
	s_and_saveexec_b64 s[0:1], vcc
	s_xor_b64 s[0:1], exec, s[0:1]
; %bb.70:                               ;   in Loop: Header=BB0_6 Depth=2
	v_mul_f64 v[26:27], v[30:31], v[30:31]
	v_mul_f64 v[24:25], v[28:29], v[28:29]
                                        ; implicit-def: $vgpr28_vgpr29
; %bb.71:                               ;   in Loop: Header=BB0_6 Depth=2
	s_andn2_saveexec_b64 s[0:1], s[0:1]
	s_cbranch_execz .LBB0_75
; %bb.72:                               ;   in Loop: Header=BB0_6 Depth=2
	v_cmp_ge_f64_e32 vcc, 0, v[28:29]
	s_and_saveexec_b64 s[38:39], vcc
	s_xor_b64 s[38:39], exec, s[38:39]
	s_andn2_saveexec_b64 s[38:39], s[38:39]
; %bb.73:                               ;   in Loop: Header=BB0_6 Depth=2
	v_max_f64 v[24:25], v[24:25], v[26:27]
	v_mov_b64_e32 v[26:27], 0
; %bb.74:                               ;   in Loop: Header=BB0_6 Depth=2
	s_or_b64 exec, exec, s[38:39]
.LBB0_75:                               ;   in Loop: Header=BB0_6 Depth=2
	s_or_b64 exec, exec, s[0:1]
	v_mul_f64 v[28:29], v[8:9], v[4:5]
	v_mul_f64 v[30:31], v[8:9], v[6:7]
	v_min_f64 v[36:37], v[28:29], v[30:31]
	v_max_f64 v[28:29], v[28:29], v[30:31]
	v_add_f64 v[26:27], v[36:37], v[26:27]
	v_add_f64 v[24:25], v[28:29], v[24:25]
	;; [unrolled: 1-line block ×3, first 2 shown]
	v_add_f64 v[24:25], v[24:25], -v[26:27]
	v_cmp_u_f64_e32 vcc, v[28:29], v[28:29]
	v_cmp_ge_f64_e64 s[0:1], s[18:19], v[24:25]
	s_or_b64 s[0:1], vcc, s[0:1]
	s_orn2_b64 s[38:39], s[0:1], exec
.LBB0_76:                               ;   in Loop: Header=BB0_6 Depth=2
	s_or_b64 exec, exec, s[36:37]
	s_and_saveexec_b64 s[0:1], s[38:39]
	s_cbranch_execz .LBB0_78
; %bb.77:                               ;   in Loop: Header=BB0_6 Depth=2
	v_ashrrev_i32_e32 v15, 31, v14
	v_lshl_add_u64 v[24:25], v[14:15], 4, s[8:9]
	global_store_dwordx4 v[24:25], v[4:7], off
	v_add_u32_e32 v14, 0x10000, v14
	v_mov_b32_e32 v13, v14
	v_mov_b32_e32 v6, 0
	v_mov_b32_e32 v7, 0x7ff80000
	v_mov_b64_e32 v[4:5], v[6:7]
.LBB0_78:                               ;   in Loop: Header=BB0_6 Depth=2
	s_or_b64 exec, exec, s[0:1]
.LBB0_79:                               ;   in Loop: Header=BB0_6 Depth=2
	s_or_b64 exec, exec, s[34:35]
.LBB0_80:                               ;   in Loop: Header=BB0_6 Depth=2
	s_or_b64 exec, exec, s[30:31]
	v_add_f64 v[24:25], v[16:17], -v[18:19]
	v_mul_f64 v[24:25], v[24:25], s[20:21]
	v_cmp_o_f64_e32 vcc, v[22:23], v[22:23]
	v_add_f64 v[22:23], v[0:1], v[2:3]
	s_nop 0
	v_cndmask_b32_e32 v27, 0, v25, vcc
	v_cndmask_b32_e32 v26, 0, v24, vcc
	v_add_f64 v[24:25], v[2:3], -v[0:1]
	v_cmp_o_f64_e32 vcc, v[22:23], v[22:23]
	v_cmp_gt_f64_e64 s[0:1], v[24:25], v[26:27]
	s_and_b64 s[30:31], vcc, s[0:1]
	s_xor_b64 s[0:1], s[30:31], -1
                                        ; implicit-def: $vgpr24_vgpr25
	s_and_saveexec_b64 s[34:35], s[0:1]
; %bb.81:                               ;   in Loop: Header=BB0_6 Depth=2
	v_add_f64 v[24:25], v[4:5], v[6:7]
	v_add_f64 v[28:29], v[6:7], -v[4:5]
	v_cmp_o_f64_e32 vcc, v[24:25], v[24:25]
	v_cmp_gt_f64_e64 s[0:1], v[28:29], v[26:27]
	s_and_b64 s[0:1], vcc, s[0:1]
	s_andn2_b64 s[30:31], s[30:31], exec
	s_and_b64 s[0:1], s[0:1], exec
	s_or_b64 s[30:31], s[30:31], s[0:1]
; %bb.82:                               ;   in Loop: Header=BB0_6 Depth=2
	s_or_b64 exec, exec, s[34:35]
	s_and_saveexec_b64 s[0:1], s[30:31]
; %bb.83:                               ;   in Loop: Header=BB0_6 Depth=2
	v_add_f64 v[22:23], v[18:19], v[20:21]
	v_add_f64 v[24:25], v[20:21], v[16:17]
	s_or_b64 s[2:3], s[2:3], exec
	v_mov_b64_e32 v[4:5], v[20:21]
	v_mov_b64_e32 v[6:7], v[16:17]
	;; [unrolled: 1-line block ×4, first 2 shown]
; %bb.84:                               ;   in Loop: Header=BB0_6 Depth=2
	s_or_b64 exec, exec, s[0:1]
	v_cmp_o_f64_e64 s[0:1], v[24:25], v[24:25]
	v_cmp_o_f64_e32 vcc, v[22:23], v[22:23]
	s_and_b64 s[2:3], s[2:3], s[0:1]
	s_mov_b64 s[0:1], -1
	s_and_saveexec_b64 s[30:31], vcc
	s_xor_b64 s[30:31], exec, s[30:31]
; %bb.85:                               ;   in Loop: Header=BB0_6 Depth=2
	s_orn2_b64 s[0:1], s[2:3], exec
; %bb.86:                               ;   in Loop: Header=BB0_6 Depth=2
	s_or_saveexec_b64 s[30:31], s[30:31]
	s_or_b64 s[28:29], s[28:29], exec
	v_mov_b64_e32 v[16:17], v[2:3]
	v_mov_b64_e32 v[18:19], v[0:1]
	s_xor_b64 exec, exec, s[30:31]
	s_cbranch_execz .LBB0_5
; %bb.87:                               ;   in Loop: Header=BB0_6 Depth=2
	s_xor_b64 s[2:3], s[2:3], -1
	s_andn2_b64 s[0:1], s[0:1], exec
	s_and_b64 s[2:3], s[2:3], exec
	s_andn2_b64 s[28:29], s[28:29], exec
	s_or_b64 s[0:1], s[0:1], s[2:3]
	v_mov_b64_e32 v[16:17], v[6:7]
	v_mov_b64_e32 v[18:19], v[4:5]
	s_branch .LBB0_5
.LBB0_88:                               ;   in Loop: Header=BB0_4 Depth=1
	s_or_b64 exec, exec, s[26:27]
	s_mov_b64 s[2:3], -1
                                        ; implicit-def: $vgpr15
	s_and_saveexec_b64 s[0:1], s[24:25]
	s_xor_b64 s[0:1], exec, s[0:1]
	s_cbranch_execz .LBB0_90
; %bb.89:                               ;   in Loop: Header=BB0_4 Depth=1
	v_lshlrev_b32_e32 v16, 4, v34
	v_add_u32_e32 v15, 1, v34
	v_add3_u32 v16, s42, v16, 16
	s_xor_b64 s[2:3], exec, -1
	scratch_store_dwordx4 v16, v[4:7], off
.LBB0_90:                               ;   in Loop: Header=BB0_4 Depth=1
	s_or_b64 exec, exec, s[0:1]
	s_and_b64 s[0:1], exec, s[2:3]
	s_or_b64 s[22:23], s[0:1], s[22:23]
	s_andn2_b64 exec, exec, s[22:23]
	s_cbranch_execnz .LBB0_4
; %bb.91:                               ;   in Loop: Header=BB0_4 Depth=1
	s_or_b64 exec, exec, s[22:23]
	v_cmp_ne_u32_e32 vcc, -1, v34
	s_mov_b64 s[2:3], -1
                                        ; implicit-def: $vgpr2_vgpr3
                                        ; implicit-def: $vgpr15
	s_and_saveexec_b64 s[0:1], vcc
	s_cbranch_execz .LBB0_3
; %bb.92:                               ;   in Loop: Header=BB0_4 Depth=1
	v_lshl_add_u32 v0, v34, 4, v33
	scratch_load_dwordx4 v[0:3], v0, off
	v_add_u32_e32 v15, -1, v34
	s_xor_b64 s[2:3], exec, -1
	s_branch .LBB0_3
.LBB0_93:
	s_mov_b64 s[0:1], 0
                                        ; implicit-def: $vgpr13
	s_cbranch_execnz .LBB0_96
	s_branch .LBB0_97
.LBB0_94:
	s_mov_b64 s[0:1], -1
                                        ; implicit-def: $vgpr13
	s_branch .LBB0_97
.LBB0_95:
	s_or_b64 exec, exec, s[6:7]
	s_mov_b64 s[0:1], 0
	s_branch .LBB0_97
.LBB0_96:
	s_cmp_lg_u32 s33, 0
	s_mov_b64 s[4:5], -1
	s_cselect_b64 s[0:1], -1, 0
.LBB0_97:
	v_cvt_f64_i32_e32 v[16:17], v12
	s_andn2_b64 vcc, exec, s[0:1]
	v_ldexp_f64 v[14:15], -v[16:17], -16
	s_cbranch_vccz .LBB0_99
; %bb.98:
	s_and_b64 vcc, exec, s[4:5]
	s_cbranch_vccnz .LBB0_174
	s_branch .LBB0_249
.LBB0_99:
	s_mov_b32 s0, 0
	s_mov_b32 s1, 0xbef00000
	s_brev_b32 s16, 5
	s_mov_b32 s18, 0
	s_brev_b32 s20, 1
	s_waitcnt vmcnt(0)
	v_mov_b32_e32 v0, s12
	v_mov_b32_e32 v1, s13
	;; [unrolled: 1-line block ×4, first 2 shown]
	v_fma_f64 v[18:19], v[16:17], s[0:1], -2.0
	v_mov_b32_e32 v37, 0
	s_mov_b64 s[6:7], 0
	s_mov_b32 s33, 0
	v_mov_b32_e32 v34, 0
	s_mov_b32 s17, 0x3eb0c6f7
	s_mov_b32 s19, 0xfff00000
	;; [unrolled: 1-line block ×3, first 2 shown]
	v_mov_b32_e32 v35, 0x7ff80000
	v_mov_b32_e32 v36, v12
	v_mov_b32_e32 v20, v12
	scratch_store_dwordx4 off, v[0:3], off
	s_branch .LBB0_102
.LBB0_100:                              ;   in Loop: Header=BB0_102 Depth=1
	s_or_b64 exec, exec, s[0:1]
	v_mov_b32_e32 v6, v20
	v_mov_b32_e32 v13, v36
.LBB0_101:                              ;   in Loop: Header=BB0_102 Depth=1
	s_or_b64 exec, exec, s[22:23]
	v_cmp_eq_u32_e32 vcc, -1, v21
	s_or_b64 s[6:7], vcc, s[6:7]
	v_mov_b32_e32 v36, v13
	v_mov_b32_e32 v20, v6
	;; [unrolled: 1-line block ×3, first 2 shown]
	s_andn2_b64 exec, exec, s[6:7]
	s_cbranch_execz .LBB0_173
.LBB0_102:                              ; =>This Inner Loop Header: Depth=1
	v_lshl_add_u32 v38, v37, 4, v34
	scratch_load_dwordx4 v[0:3], v38, off
	s_mov_b64 s[2:3], 0
                                        ; implicit-def: $vgpr6
                                        ; implicit-def: $vgpr13
	s_waitcnt vmcnt(0)
	v_add_f64 v[4:5], v[0:1], v[2:3]
	v_add_f64 v[24:25], v[2:3], -v[0:1]
	v_cmp_u_f64_e64 s[0:1], v[4:5], v[4:5]
	v_cmp_o_f64_e32 vcc, v[4:5], v[4:5]
	v_mul_f64 v[22:23], v[4:5], 0.5
	s_and_saveexec_b64 s[4:5], vcc
	s_xor_b64 s[4:5], exec, s[4:5]
	s_cbranch_execnz .LBB0_105
; %bb.103:                              ;   in Loop: Header=BB0_102 Depth=1
	s_andn2_saveexec_b64 s[4:5], s[4:5]
	s_cbranch_execnz .LBB0_116
.LBB0_104:                              ;   in Loop: Header=BB0_102 Depth=1
	s_or_b64 exec, exec, s[4:5]
	v_add_u32_e32 v21, -1, v37
	s_and_saveexec_b64 s[22:23], s[2:3]
	s_cbranch_execz .LBB0_101
	s_branch .LBB0_117
.LBB0_105:                              ;   in Loop: Header=BB0_102 Depth=1
	v_mul_f64 v[22:23], v[4:5], 0.5
	v_mul_f64 v[4:5], |v[22:23]|, s[16:17]
	v_cmp_nle_f64_e32 vcc, v[24:25], v[4:5]
	s_mov_b64 s[2:3], -1
	s_mov_b64 s[24:25], 0
	s_and_saveexec_b64 s[22:23], vcc
	s_cbranch_execz .LBB0_113
; %bb.106:                              ;   in Loop: Header=BB0_102 Depth=1
	v_add_f64 v[10:11], v[0:1], -1.0
	v_add_f64 v[8:9], v[2:3], -1.0
	v_cmp_le_f64_e32 vcc, 0, v[10:11]
	v_mul_f64 v[4:5], v[10:11], v[10:11]
	v_mul_f64 v[6:7], v[8:9], v[8:9]
	s_and_saveexec_b64 s[2:3], vcc
	s_xor_b64 s[2:3], exec, s[2:3]
; %bb.107:                              ;   in Loop: Header=BB0_102 Depth=1
	v_mul_f64 v[6:7], v[10:11], v[10:11]
	v_mul_f64 v[4:5], v[8:9], v[8:9]
                                        ; implicit-def: $vgpr8_vgpr9
; %bb.108:                              ;   in Loop: Header=BB0_102 Depth=1
	s_andn2_saveexec_b64 s[2:3], s[2:3]
	s_cbranch_execz .LBB0_112
; %bb.109:                              ;   in Loop: Header=BB0_102 Depth=1
	v_cmp_ge_f64_e32 vcc, 0, v[8:9]
	s_and_saveexec_b64 s[24:25], vcc
	s_xor_b64 s[24:25], exec, s[24:25]
	s_andn2_saveexec_b64 s[24:25], s[24:25]
; %bb.110:                              ;   in Loop: Header=BB0_102 Depth=1
	v_max_f64 v[4:5], v[4:5], v[6:7]
	v_mov_b64_e32 v[6:7], 0
; %bb.111:                              ;   in Loop: Header=BB0_102 Depth=1
	s_or_b64 exec, exec, s[24:25]
.LBB0_112:                              ;   in Loop: Header=BB0_102 Depth=1
	s_or_b64 exec, exec, s[2:3]
	v_mul_f64 v[8:9], v[14:15], v[0:1]
	v_mul_f64 v[10:11], v[14:15], v[2:3]
	v_min_f64 v[26:27], v[8:9], v[10:11]
	v_max_f64 v[8:9], v[8:9], v[10:11]
	v_add_f64 v[6:7], v[26:27], v[6:7]
	v_add_f64 v[4:5], v[8:9], v[4:5]
	;; [unrolled: 1-line block ×3, first 2 shown]
	v_add_f64 v[4:5], v[4:5], -v[6:7]
	v_cmp_u_f64_e32 vcc, v[8:9], v[8:9]
	v_cmp_ge_f64_e64 s[2:3], s[16:17], v[4:5]
	s_or_b64 s[2:3], vcc, s[2:3]
	s_mov_b64 s[24:25], exec
	s_orn2_b64 s[2:3], s[2:3], exec
.LBB0_113:                              ;   in Loop: Header=BB0_102 Depth=1
	s_or_b64 exec, exec, s[22:23]
                                        ; implicit-def: $vgpr6
                                        ; implicit-def: $vgpr13
	s_and_saveexec_b64 s[22:23], s[2:3]
	s_xor_b64 s[2:3], exec, s[22:23]
	s_cbranch_execz .LBB0_115
; %bb.114:                              ;   in Loop: Header=BB0_102 Depth=1
	v_ashrrev_i32_e32 v21, 31, v20
	v_lshl_add_u64 v[4:5], v[20:21], 4, s[8:9]
	v_add_u32_e32 v6, 0x10000, v20
	global_store_dwordx4 v[4:5], v[0:3], off
	s_andn2_b64 s[24:25], s[24:25], exec
	v_mov_b32_e32 v13, v6
.LBB0_115:                              ;   in Loop: Header=BB0_102 Depth=1
	s_or_b64 exec, exec, s[2:3]
	s_and_b64 s[2:3], s[24:25], exec
	s_andn2_saveexec_b64 s[4:5], s[4:5]
	s_cbranch_execz .LBB0_104
.LBB0_116:                              ;   in Loop: Header=BB0_102 Depth=1
	s_or_b64 s[2:3], s[2:3], exec
	s_or_b64 exec, exec, s[4:5]
	v_add_u32_e32 v21, -1, v37
	s_and_saveexec_b64 s[22:23], s[2:3]
	s_cbranch_execz .LBB0_101
.LBB0_117:                              ;   in Loop: Header=BB0_102 Depth=1
	v_add_f64 v[4:5], v[22:23], -1.0
	v_mul_f64 v[8:9], v[4:5], v[4:5]
	v_cmp_o_f64_e32 vcc, v[4:5], v[4:5]
	v_add_f64 v[4:5], v[0:1], v[0:1]
	v_add_f64 v[6:7], v[2:3], v[2:3]
	v_min_f64 v[10:11], v[4:5], v[6:7]
	v_max_f64 v[4:5], v[4:5], v[6:7]
	v_add_f64 v[10:11], v[18:19], v[10:11]
	v_add_f64 v[28:29], v[18:19], v[4:5]
	v_cndmask_b32_e32 v27, 0, v9, vcc
	v_cndmask_b32_e32 v26, 0, v8, vcc
	v_cmp_ge_f64_e32 vcc, 0, v[10:11]
	v_cmp_le_f64_e64 s[2:3], 0, v[28:29]
	v_fmac_f64_e32 v[26:27], v[14:15], v[22:23]
	v_fmac_f64_e32 v[8:9], v[14:15], v[22:23]
	s_and_b64 s[2:3], vcc, s[2:3]
                                        ; implicit-def: $sgpr4_sgpr5
                                        ; implicit-def: $vgpr32_vgpr33
                                        ; implicit-def: $vgpr30_vgpr31
	s_and_saveexec_b64 s[24:25], s[2:3]
	s_xor_b64 s[24:25], exec, s[24:25]
	s_cbranch_execz .LBB0_153
; %bb.118:                              ;   in Loop: Header=BB0_102 Depth=1
	v_cmp_eq_f64_e64 s[4:5], 0, v[10:11]
	v_cmp_neq_f64_e32 vcc, 0, v[28:29]
	v_cmp_eq_f64_e64 s[2:3], 0, v[28:29]
                                        ; implicit-def: $vgpr32_vgpr33
                                        ; implicit-def: $vgpr30_vgpr31
	s_and_saveexec_b64 s[26:27], s[4:5]
	s_xor_b64 s[26:27], exec, s[26:27]
	s_cbranch_execz .LBB0_130
; %bb.119:                              ;   in Loop: Header=BB0_102 Depth=1
	v_mov_b32_e32 v32, 0
	v_mov_b32_e32 v30, 0
	;; [unrolled: 1-line block ×4, first 2 shown]
	s_and_saveexec_b64 s[28:29], vcc
	s_cbranch_execz .LBB0_129
; %bb.120:                              ;   in Loop: Header=BB0_102 Depth=1
	v_cmp_neq_f64_e32 vcc, 0, v[26:27]
	v_cmp_neq_f64_e64 s[4:5], 0, v[8:9]
	s_or_b64 s[30:31], s[4:5], vcc
	v_mov_b64_e32 v[32:33], v[26:27]
	v_mov_b64_e32 v[30:31], v[8:9]
	s_and_saveexec_b64 s[4:5], s[30:31]
	s_cbranch_execz .LBB0_128
; %bb.121:                              ;   in Loop: Header=BB0_102 Depth=1
	v_cmp_ngt_f64_e32 vcc, 0, v[8:9]
                                        ; implicit-def: $vgpr32_vgpr33
	s_and_saveexec_b64 s[30:31], vcc
	s_xor_b64 s[30:31], exec, s[30:31]
	s_cbranch_execz .LBB0_125
; %bb.122:                              ;   in Loop: Header=BB0_102 Depth=1
	v_mov_b32_e32 v32, 0
	v_cmp_ngt_f64_e32 vcc, 0, v[26:27]
	v_mov_b32_e32 v33, 0xfff00000
	s_and_saveexec_b64 s[34:35], vcc
	s_cbranch_execz .LBB0_124
; %bb.123:                              ;   in Loop: Header=BB0_102 Depth=1
	v_div_scale_f64 v[4:5], s[36:37], v[28:29], v[28:29], v[26:27]
	v_rcp_f64_e32 v[6:7], v[4:5]
	v_div_scale_f64 v[30:31], vcc, v[26:27], v[28:29], v[26:27]
	v_fma_f64 v[32:33], -v[4:5], v[6:7], 1.0
	v_fmac_f64_e32 v[6:7], v[6:7], v[32:33]
	v_fma_f64 v[32:33], -v[4:5], v[6:7], 1.0
	v_fmac_f64_e32 v[6:7], v[6:7], v[32:33]
	v_mul_f64 v[32:33], v[30:31], v[6:7]
	v_fma_f64 v[4:5], -v[4:5], v[32:33], v[30:31]
	v_div_fmas_f64 v[4:5], v[4:5], v[6:7], v[32:33]
	v_div_fixup_f64 v[32:33], v[4:5], v[28:29], v[26:27]
.LBB0_124:                              ;   in Loop: Header=BB0_102 Depth=1
	s_or_b64 exec, exec, s[34:35]
.LBB0_125:                              ;   in Loop: Header=BB0_102 Depth=1
	s_or_saveexec_b64 s[30:31], s[30:31]
	v_mov_b32_e32 v30, 0
	v_mov_b32_e32 v31, 0x7ff00000
	s_xor_b64 exec, exec, s[30:31]
	s_cbranch_execz .LBB0_127
; %bb.126:                              ;   in Loop: Header=BB0_102 Depth=1
	v_div_scale_f64 v[4:5], s[34:35], v[28:29], v[28:29], v[8:9]
	v_rcp_f64_e32 v[6:7], v[4:5]
	v_div_scale_f64 v[30:31], vcc, v[8:9], v[28:29], v[8:9]
	v_fma_f64 v[32:33], -v[4:5], v[6:7], 1.0
	v_fmac_f64_e32 v[6:7], v[6:7], v[32:33]
	v_fma_f64 v[32:33], -v[4:5], v[6:7], 1.0
	v_fmac_f64_e32 v[6:7], v[6:7], v[32:33]
	v_mul_f64 v[32:33], v[30:31], v[6:7]
	v_fma_f64 v[4:5], -v[4:5], v[32:33], v[30:31]
	v_div_fmas_f64 v[4:5], v[4:5], v[6:7], v[32:33]
	v_mov_b32_e32 v32, 0
	v_div_fixup_f64 v[30:31], v[4:5], v[28:29], v[8:9]
	v_mov_b32_e32 v33, 0xfff00000
.LBB0_127:                              ;   in Loop: Header=BB0_102 Depth=1
	s_or_b64 exec, exec, s[30:31]
.LBB0_128:                              ;   in Loop: Header=BB0_102 Depth=1
	s_or_b64 exec, exec, s[4:5]
.LBB0_129:                              ;   in Loop: Header=BB0_102 Depth=1
	s_or_b64 exec, exec, s[28:29]
.LBB0_130:                              ;   in Loop: Header=BB0_102 Depth=1
	s_or_saveexec_b64 s[26:27], s[26:27]
	s_mov_b64 s[4:5], 0
	s_xor_b64 exec, exec, s[26:27]
	s_cbranch_execz .LBB0_152
; %bb.131:                              ;   in Loop: Header=BB0_102 Depth=1
	v_cmp_neq_f64_e32 vcc, 0, v[26:27]
	v_cmp_neq_f64_e64 s[4:5], 0, v[8:9]
	s_or_b64 s[4:5], s[4:5], vcc
                                        ; implicit-def: $vgpr32_vgpr33
                                        ; implicit-def: $vgpr30_vgpr31
	s_and_saveexec_b64 s[28:29], s[2:3]
	s_xor_b64 s[2:3], exec, s[28:29]
	s_cbranch_execz .LBB0_141
; %bb.132:                              ;   in Loop: Header=BB0_102 Depth=1
	v_mov_b64_e32 v[32:33], v[26:27]
	v_mov_b64_e32 v[30:31], v[8:9]
	s_and_saveexec_b64 s[28:29], s[4:5]
	s_cbranch_execz .LBB0_140
; %bb.133:                              ;   in Loop: Header=BB0_102 Depth=1
	v_cmp_ngt_f64_e32 vcc, 0, v[8:9]
                                        ; implicit-def: $vgpr30_vgpr31
	s_and_saveexec_b64 s[30:31], vcc
	s_xor_b64 s[30:31], exec, s[30:31]
	s_cbranch_execz .LBB0_137
; %bb.134:                              ;   in Loop: Header=BB0_102 Depth=1
	v_mov_b32_e32 v30, 0
	v_cmp_ngt_f64_e32 vcc, 0, v[26:27]
	v_mov_b32_e32 v31, 0x7ff00000
	s_and_saveexec_b64 s[34:35], vcc
	s_cbranch_execz .LBB0_136
; %bb.135:                              ;   in Loop: Header=BB0_102 Depth=1
	v_div_scale_f64 v[4:5], s[36:37], v[10:11], v[10:11], v[26:27]
	v_rcp_f64_e32 v[6:7], v[4:5]
	v_div_scale_f64 v[30:31], vcc, v[26:27], v[10:11], v[26:27]
	v_fma_f64 v[32:33], -v[4:5], v[6:7], 1.0
	v_fmac_f64_e32 v[6:7], v[6:7], v[32:33]
	v_fma_f64 v[32:33], -v[4:5], v[6:7], 1.0
	v_fmac_f64_e32 v[6:7], v[6:7], v[32:33]
	v_mul_f64 v[32:33], v[30:31], v[6:7]
	v_fma_f64 v[4:5], -v[4:5], v[32:33], v[30:31]
	v_div_fmas_f64 v[4:5], v[4:5], v[6:7], v[32:33]
	v_div_fixup_f64 v[30:31], v[4:5], v[10:11], v[26:27]
.LBB0_136:                              ;   in Loop: Header=BB0_102 Depth=1
	s_or_b64 exec, exec, s[34:35]
.LBB0_137:                              ;   in Loop: Header=BB0_102 Depth=1
	s_or_saveexec_b64 s[30:31], s[30:31]
	v_mov_b32_e32 v32, 0
	v_mov_b32_e32 v33, 0xfff00000
	s_xor_b64 exec, exec, s[30:31]
	s_cbranch_execz .LBB0_139
; %bb.138:                              ;   in Loop: Header=BB0_102 Depth=1
	v_div_scale_f64 v[4:5], s[34:35], v[10:11], v[10:11], v[8:9]
	v_rcp_f64_e32 v[6:7], v[4:5]
	v_div_scale_f64 v[30:31], vcc, v[8:9], v[10:11], v[8:9]
	v_fma_f64 v[32:33], -v[4:5], v[6:7], 1.0
	v_fmac_f64_e32 v[6:7], v[6:7], v[32:33]
	v_fma_f64 v[32:33], -v[4:5], v[6:7], 1.0
	v_fmac_f64_e32 v[6:7], v[6:7], v[32:33]
	v_mul_f64 v[32:33], v[30:31], v[6:7]
	v_fma_f64 v[4:5], -v[4:5], v[32:33], v[30:31]
	v_div_fmas_f64 v[4:5], v[4:5], v[6:7], v[32:33]
	v_mov_b32_e32 v30, 0
	v_div_fixup_f64 v[32:33], v[4:5], v[10:11], v[8:9]
	v_mov_b32_e32 v31, 0x7ff00000
.LBB0_139:                              ;   in Loop: Header=BB0_102 Depth=1
	s_or_b64 exec, exec, s[30:31]
.LBB0_140:                              ;   in Loop: Header=BB0_102 Depth=1
	s_or_b64 exec, exec, s[28:29]
.LBB0_141:                              ;   in Loop: Header=BB0_102 Depth=1
	s_or_saveexec_b64 s[2:3], s[2:3]
	s_mov_b64 s[28:29], 0
	s_xor_b64 exec, exec, s[2:3]
	s_cbranch_execz .LBB0_151
; %bb.142:                              ;   in Loop: Header=BB0_102 Depth=1
	s_mov_b64 s[30:31], 0
	v_mov_b64_e32 v[32:33], v[26:27]
	v_mov_b64_e32 v[30:31], v[8:9]
	s_and_saveexec_b64 s[28:29], s[4:5]
	s_cbranch_execz .LBB0_150
; %bb.143:                              ;   in Loop: Header=BB0_102 Depth=1
	v_cmp_ngt_f64_e32 vcc, 0, v[8:9]
                                        ; implicit-def: $sgpr4_sgpr5
                                        ; implicit-def: $vgpr30_vgpr31
	s_and_saveexec_b64 s[30:31], vcc
	s_xor_b64 s[30:31], exec, s[30:31]
	s_cbranch_execz .LBB0_147
; %bb.144:                              ;   in Loop: Header=BB0_102 Depth=1
	v_mov_b32_e32 v30, 0
	v_cmp_ngt_f64_e32 vcc, 0, v[26:27]
	s_mov_b64 s[4:5], 0
	v_mov_b32_e32 v31, 0x7ff00000
	s_and_saveexec_b64 s[34:35], vcc
	s_cbranch_execz .LBB0_146
; %bb.145:                              ;   in Loop: Header=BB0_102 Depth=1
	v_div_scale_f64 v[4:5], s[36:37], v[10:11], v[10:11], v[26:27]
	v_rcp_f64_e32 v[6:7], v[4:5]
	s_mov_b64 s[4:5], exec
	v_fma_f64 v[30:31], -v[4:5], v[6:7], 1.0
	v_fmac_f64_e32 v[6:7], v[6:7], v[30:31]
	v_fma_f64 v[30:31], -v[4:5], v[6:7], 1.0
	v_fmac_f64_e32 v[6:7], v[6:7], v[30:31]
	v_div_scale_f64 v[30:31], vcc, v[26:27], v[10:11], v[26:27]
	v_mul_f64 v[32:33], v[30:31], v[6:7]
	v_fma_f64 v[4:5], -v[4:5], v[32:33], v[30:31]
	s_nop 1
	v_div_fmas_f64 v[4:5], v[4:5], v[6:7], v[32:33]
	v_div_fixup_f64 v[30:31], v[4:5], v[10:11], v[26:27]
.LBB0_146:                              ;   in Loop: Header=BB0_102 Depth=1
	s_or_b64 exec, exec, s[34:35]
.LBB0_147:                              ;   in Loop: Header=BB0_102 Depth=1
	s_andn2_saveexec_b64 s[30:31], s[30:31]
	s_cbranch_execz .LBB0_149
; %bb.148:                              ;   in Loop: Header=BB0_102 Depth=1
	v_div_scale_f64 v[4:5], s[34:35], v[28:29], v[28:29], v[8:9]
	v_rcp_f64_e32 v[6:7], v[4:5]
	v_div_scale_f64 v[30:31], vcc, v[8:9], v[28:29], v[8:9]
	s_or_b64 s[4:5], s[4:5], exec
	v_fma_f64 v[32:33], -v[4:5], v[6:7], 1.0
	v_fmac_f64_e32 v[6:7], v[6:7], v[32:33]
	v_fma_f64 v[32:33], -v[4:5], v[6:7], 1.0
	v_fmac_f64_e32 v[6:7], v[6:7], v[32:33]
	v_mul_f64 v[32:33], v[30:31], v[6:7]
	v_fma_f64 v[4:5], -v[4:5], v[32:33], v[30:31]
	v_div_fmas_f64 v[4:5], v[4:5], v[6:7], v[32:33]
	v_div_fixup_f64 v[30:31], v[4:5], v[28:29], v[8:9]
.LBB0_149:                              ;   in Loop: Header=BB0_102 Depth=1
	s_or_b64 exec, exec, s[30:31]
	v_mov_b32_e32 v32, 0
	v_mov_b32_e32 v33, 0xfff00000
	s_and_b64 s[30:31], s[4:5], exec
.LBB0_150:                              ;   in Loop: Header=BB0_102 Depth=1
	s_or_b64 exec, exec, s[28:29]
	s_and_b64 s[28:29], s[30:31], exec
.LBB0_151:                              ;   in Loop: Header=BB0_102 Depth=1
	s_or_b64 exec, exec, s[2:3]
	s_and_b64 s[4:5], s[28:29], exec
.LBB0_152:                              ;   in Loop: Header=BB0_102 Depth=1
	s_or_b64 exec, exec, s[26:27]
.LBB0_153:                              ;   in Loop: Header=BB0_102 Depth=1
	s_andn2_saveexec_b64 s[24:25], s[24:25]
	s_cbranch_execz .LBB0_159
; %bb.154:                              ;   in Loop: Header=BB0_102 Depth=1
	v_cmp_gt_f64_e32 vcc, 0, v[28:29]
	v_cmp_ngt_f64_e64 s[2:3], 0, v[8:9]
	v_mov_b64_e32 v[4:5], v[28:29]
	v_mov_b64_e32 v[6:7], v[10:11]
	s_and_saveexec_b64 s[26:27], s[2:3]
	s_cbranch_execz .LBB0_158
; %bb.155:                              ;   in Loop: Header=BB0_102 Depth=1
	v_cmp_gt_f64_e64 s[2:3], 0, v[26:27]
	v_mov_b64_e32 v[6:7], v[28:29]
	v_mov_b64_e32 v[4:5], v[10:11]
	s_and_saveexec_b64 s[28:29], s[2:3]
; %bb.156:                              ;   in Loop: Header=BB0_102 Depth=1
	v_cndmask_b32_e32 v7, v11, v29, vcc
	v_cndmask_b32_e32 v6, v10, v28, vcc
	v_mov_b64_e32 v[4:5], v[6:7]
; %bb.157:                              ;   in Loop: Header=BB0_102 Depth=1
	s_or_b64 exec, exec, s[28:29]
.LBB0_158:                              ;   in Loop: Header=BB0_102 Depth=1
	s_or_b64 exec, exec, s[26:27]
	v_cndmask_b32_e32 v31, v27, v9, vcc
	v_cndmask_b32_e32 v30, v26, v8, vcc
	v_div_scale_f64 v[32:33], s[2:3], v[6:7], v[6:7], v[30:31]
	v_rcp_f64_e32 v[40:41], v[32:33]
	v_cndmask_b32_e32 v43, v9, v27, vcc
	v_cndmask_b32_e32 v42, v8, v26, vcc
	s_andn2_b64 s[4:5], s[4:5], exec
	v_fma_f64 v[44:45], -v[32:33], v[40:41], 1.0
	v_fmac_f64_e32 v[40:41], v[40:41], v[44:45]
	v_fma_f64 v[44:45], -v[32:33], v[40:41], 1.0
	v_fmac_f64_e32 v[40:41], v[40:41], v[44:45]
	v_div_scale_f64 v[44:45], vcc, v[30:31], v[6:7], v[30:31]
	v_mul_f64 v[46:47], v[44:45], v[40:41]
	v_fma_f64 v[32:33], -v[32:33], v[46:47], v[44:45]
	v_div_scale_f64 v[44:45], s[2:3], v[4:5], v[4:5], v[42:43]
	v_rcp_f64_e32 v[48:49], v[44:45]
	v_div_fmas_f64 v[32:33], v[32:33], v[40:41], v[46:47]
	v_div_fixup_f64 v[32:33], v[32:33], v[6:7], v[30:31]
	v_fma_f64 v[6:7], -v[44:45], v[48:49], 1.0
	v_fmac_f64_e32 v[48:49], v[48:49], v[6:7]
	v_fma_f64 v[6:7], -v[44:45], v[48:49], 1.0
	v_fmac_f64_e32 v[48:49], v[48:49], v[6:7]
	v_div_scale_f64 v[6:7], vcc, v[42:43], v[4:5], v[42:43]
	v_mul_f64 v[30:31], v[6:7], v[48:49]
	v_fma_f64 v[6:7], -v[44:45], v[30:31], v[6:7]
	s_nop 1
	v_div_fmas_f64 v[6:7], v[6:7], v[48:49], v[30:31]
	v_div_fixup_f64 v[30:31], v[6:7], v[4:5], v[42:43]
.LBB0_159:                              ;   in Loop: Header=BB0_102 Depth=1
	s_or_b64 exec, exec, s[24:25]
	v_mov_b32_e32 v6, 0
	v_mov_b32_e32 v4, 0
	;; [unrolled: 1-line block ×4, first 2 shown]
	s_and_saveexec_b64 s[2:3], s[4:5]
	s_cbranch_execz .LBB0_165
; %bb.160:                              ;   in Loop: Header=BB0_102 Depth=1
	v_cmp_ngt_f64_e32 vcc, 0, v[8:9]
                                        ; implicit-def: $vgpr4_vgpr5
	s_and_saveexec_b64 s[24:25], vcc
	s_xor_b64 s[24:25], exec, s[24:25]
	s_cbranch_execz .LBB0_162
; %bb.161:                              ;   in Loop: Header=BB0_102 Depth=1
	v_div_scale_f64 v[4:5], s[26:27], v[28:29], v[28:29], v[26:27]
	v_rcp_f64_e32 v[6:7], v[4:5]
	v_div_scale_f64 v[8:9], vcc, v[26:27], v[28:29], v[26:27]
	v_fma_f64 v[10:11], -v[4:5], v[6:7], 1.0
	v_fmac_f64_e32 v[6:7], v[6:7], v[10:11]
	v_fma_f64 v[10:11], -v[4:5], v[6:7], 1.0
	v_fmac_f64_e32 v[6:7], v[6:7], v[10:11]
	v_mul_f64 v[10:11], v[8:9], v[6:7]
	v_fma_f64 v[4:5], -v[4:5], v[10:11], v[8:9]
	v_div_fmas_f64 v[4:5], v[4:5], v[6:7], v[10:11]
	v_div_fixup_f64 v[4:5], v[4:5], v[28:29], v[26:27]
                                        ; implicit-def: $vgpr10_vgpr11
                                        ; implicit-def: $vgpr8_vgpr9
.LBB0_162:                              ;   in Loop: Header=BB0_102 Depth=1
	s_andn2_saveexec_b64 s[24:25], s[24:25]
	s_cbranch_execz .LBB0_164
; %bb.163:                              ;   in Loop: Header=BB0_102 Depth=1
	v_div_scale_f64 v[4:5], s[26:27], v[10:11], v[10:11], v[8:9]
	v_rcp_f64_e32 v[6:7], v[4:5]
	v_div_scale_f64 v[26:27], vcc, v[8:9], v[10:11], v[8:9]
	v_fma_f64 v[28:29], -v[4:5], v[6:7], 1.0
	v_fmac_f64_e32 v[6:7], v[6:7], v[28:29]
	v_fma_f64 v[28:29], -v[4:5], v[6:7], 1.0
	v_fmac_f64_e32 v[6:7], v[6:7], v[28:29]
	v_mul_f64 v[28:29], v[26:27], v[6:7]
	v_fma_f64 v[4:5], -v[4:5], v[28:29], v[26:27]
	v_div_fmas_f64 v[4:5], v[4:5], v[6:7], v[28:29]
	v_div_fixup_f64 v[4:5], v[4:5], v[10:11], v[8:9]
.LBB0_164:                              ;   in Loop: Header=BB0_102 Depth=1
	s_or_b64 exec, exec, s[24:25]
	v_add_f64 v[6:7], v[22:23], s[18:19]
	v_max_f64 v[8:9], v[0:1], v[0:1]
	v_add_f64 v[4:5], v[22:23], -v[4:5]
	v_max_f64 v[6:7], v[6:7], v[8:9]
	v_max_f64 v[8:9], v[2:3], v[2:3]
	v_min_f64 v[8:9], v[4:5], v[8:9]
	v_cmp_nle_f64_e32 vcc, v[6:7], v[8:9]
	s_nop 1
	v_cndmask_b32_e32 v5, v7, v35, vcc
	v_cndmask_b32_e64 v4, v6, 0, vcc
	v_cndmask_b32_e32 v7, v9, v35, vcc
	v_cndmask_b32_e64 v6, v8, 0, vcc
.LBB0_165:                              ;   in Loop: Header=BB0_102 Depth=1
	s_or_b64 exec, exec, s[2:3]
	v_add_f64 v[8:9], v[22:23], -v[30:31]
	v_max_f64 v[26:27], v[0:1], v[0:1]
	v_add_f64 v[10:11], v[22:23], -v[32:33]
	v_max_f64 v[8:9], v[8:9], v[26:27]
	v_max_f64 v[26:27], v[2:3], v[2:3]
	v_min_f64 v[10:11], v[10:11], v[26:27]
	v_cmp_nle_f64_e32 vcc, v[8:9], v[10:11]
	v_mul_f64 v[24:25], v[24:25], s[20:21]
	v_cndmask_b32_e64 v27, v25, 0, s[0:1]
	v_cndmask_b32_e32 v9, v9, v35, vcc
	v_cndmask_b32_e64 v8, v8, 0, vcc
	v_cndmask_b32_e32 v11, v11, v35, vcc
	v_cndmask_b32_e64 v10, v10, 0, vcc
	v_cndmask_b32_e64 v26, v24, 0, s[0:1]
	v_add_f64 v[24:25], v[8:9], v[10:11]
	v_add_f64 v[28:29], v[10:11], -v[8:9]
	v_cmp_o_f64_e32 vcc, v[24:25], v[24:25]
	v_cmp_gt_f64_e64 s[0:1], v[28:29], v[26:27]
	s_and_b64 s[2:3], vcc, s[0:1]
	s_xor_b64 s[0:1], s[2:3], -1
	s_and_saveexec_b64 s[24:25], s[0:1]
	s_cbranch_execnz .LBB0_171
; %bb.166:                              ;   in Loop: Header=BB0_102 Depth=1
	s_or_b64 exec, exec, s[24:25]
	s_and_saveexec_b64 s[0:1], s[2:3]
	s_cbranch_execnz .LBB0_172
.LBB0_167:                              ;   in Loop: Header=BB0_102 Depth=1
	s_or_b64 exec, exec, s[0:1]
	v_cmp_o_f64_e32 vcc, v[24:25], v[24:25]
	s_and_saveexec_b64 s[0:1], vcc
	s_cbranch_execz .LBB0_169
.LBB0_168:                              ;   in Loop: Header=BB0_102 Depth=1
	v_mov_b32_e32 v21, v37
	scratch_store_dwordx4 v38, v[8:11], off
.LBB0_169:                              ;   in Loop: Header=BB0_102 Depth=1
	s_or_b64 exec, exec, s[0:1]
	v_add_f64 v[0:1], v[4:5], v[6:7]
	v_cmp_o_f64_e32 vcc, v[0:1], v[0:1]
	s_and_b64 s[2:3], vcc, s[4:5]
	s_and_saveexec_b64 s[0:1], s[2:3]
	s_cbranch_execz .LBB0_100
; %bb.170:                              ;   in Loop: Header=BB0_102 Depth=1
	v_add_u32_e32 v0, 1, v21
	v_lshlrev_b32_e32 v1, 4, v21
	v_add3_u32 v1, s33, v1, 16
	v_mov_b32_e32 v21, v0
	scratch_store_dwordx4 v1, v[4:7], off
	s_branch .LBB0_100
.LBB0_171:                              ;   in Loop: Header=BB0_102 Depth=1
	v_add_f64 v[28:29], v[4:5], v[6:7]
	v_cmp_o_f64_e32 vcc, v[28:29], v[28:29]
	v_add_f64 v[28:29], v[6:7], -v[4:5]
	v_cmp_gt_f64_e64 s[0:1], v[28:29], v[26:27]
	s_and_b64 s[0:1], vcc, s[0:1]
	s_andn2_b64 s[2:3], s[2:3], exec
	s_and_b64 s[0:1], s[0:1], exec
	s_or_b64 s[2:3], s[2:3], s[0:1]
	s_or_b64 exec, exec, s[24:25]
	s_and_saveexec_b64 s[0:1], s[2:3]
	s_cbranch_execz .LBB0_167
.LBB0_172:                              ;   in Loop: Header=BB0_102 Depth=1
	v_add_f64 v[24:25], v[0:1], v[22:23]
	s_or_b64 s[4:5], s[4:5], exec
	v_mov_b64_e32 v[4:5], v[22:23]
	v_mov_b64_e32 v[6:7], v[2:3]
	;; [unrolled: 1-line block ×4, first 2 shown]
	s_or_b64 exec, exec, s[0:1]
	v_cmp_o_f64_e32 vcc, v[24:25], v[24:25]
	s_and_saveexec_b64 s[0:1], vcc
	s_cbranch_execnz .LBB0_168
	s_branch .LBB0_169
.LBB0_173:
	s_or_b64 exec, exec, s[6:7]
	s_branch .LBB0_249
.LBB0_174:
	s_mov_b32 s0, 0
	s_waitcnt vmcnt(0)
	v_mov_b32_e32 v0, s12
	v_mov_b32_e32 v1, s13
	v_mov_b32_e32 v2, s14
	v_mov_b32_e32 v3, s15
	s_mov_b32 s1, 0xbef00000
	s_brev_b32 s12, 5
	s_mov_b32 s14, 0
	s_brev_b32 s16, 1
	v_fma_f64 v[16:17], v[16:17], s[0:1], -2.0
	v_mov_b32_e32 v35, 0
	s_mov_b64 s[6:7], 0
	s_mov_b32 s30, 0
	v_mov_b32_e32 v32, 0
	s_mov_b32 s13, 0x3eb0c6f7
	s_mov_b32 s15, 0xfff00000
	;; [unrolled: 1-line block ×3, first 2 shown]
	v_mov_b32_e32 v33, 0x7ff80000
	v_mov_b32_e32 v34, v12
	;; [unrolled: 1-line block ×3, first 2 shown]
	scratch_store_dwordx4 off, v[0:3], off
	s_branch .LBB0_177
.LBB0_175:                              ;   in Loop: Header=BB0_177 Depth=1
	s_or_b64 exec, exec, s[0:1]
	v_mov_b32_e32 v6, v18
	v_mov_b32_e32 v13, v34
.LBB0_176:                              ;   in Loop: Header=BB0_177 Depth=1
	s_or_b64 exec, exec, s[18:19]
	v_cmp_eq_u32_e32 vcc, -1, v19
	s_or_b64 s[6:7], vcc, s[6:7]
	v_mov_b32_e32 v34, v13
	v_mov_b32_e32 v18, v6
	v_mov_b32_e32 v35, v19
	s_andn2_b64 exec, exec, s[6:7]
	s_cbranch_execz .LBB0_248
.LBB0_177:                              ; =>This Inner Loop Header: Depth=1
	v_lshl_add_u32 v36, v35, 4, v32
	scratch_load_dwordx4 v[0:3], v36, off
	s_mov_b64 s[2:3], 0
                                        ; implicit-def: $vgpr6
                                        ; implicit-def: $vgpr13
	s_waitcnt vmcnt(0)
	v_add_f64 v[4:5], v[0:1], v[2:3]
	v_add_f64 v[22:23], v[2:3], -v[0:1]
	v_cmp_u_f64_e64 s[0:1], v[4:5], v[4:5]
	v_cmp_o_f64_e32 vcc, v[4:5], v[4:5]
	v_mul_f64 v[20:21], v[4:5], 0.5
	s_and_saveexec_b64 s[4:5], vcc
	s_xor_b64 s[4:5], exec, s[4:5]
	s_cbranch_execnz .LBB0_180
; %bb.178:                              ;   in Loop: Header=BB0_177 Depth=1
	s_andn2_saveexec_b64 s[4:5], s[4:5]
	s_cbranch_execnz .LBB0_191
.LBB0_179:                              ;   in Loop: Header=BB0_177 Depth=1
	s_or_b64 exec, exec, s[4:5]
	v_add_u32_e32 v19, -1, v35
	s_and_saveexec_b64 s[18:19], s[2:3]
	s_cbranch_execz .LBB0_176
	s_branch .LBB0_192
.LBB0_180:                              ;   in Loop: Header=BB0_177 Depth=1
	v_mul_f64 v[20:21], v[4:5], 0.5
	v_mul_f64 v[4:5], |v[20:21]|, s[12:13]
	v_cmp_nle_f64_e32 vcc, v[22:23], v[4:5]
	s_mov_b64 s[2:3], -1
	s_mov_b64 s[20:21], 0
	s_and_saveexec_b64 s[18:19], vcc
	s_cbranch_execz .LBB0_188
; %bb.181:                              ;   in Loop: Header=BB0_177 Depth=1
	v_add_f64 v[10:11], v[0:1], -1.0
	v_add_f64 v[8:9], v[2:3], -1.0
	v_cmp_le_f64_e32 vcc, 0, v[10:11]
	v_mul_f64 v[4:5], v[10:11], v[10:11]
	v_mul_f64 v[6:7], v[8:9], v[8:9]
	s_and_saveexec_b64 s[2:3], vcc
	s_xor_b64 s[2:3], exec, s[2:3]
; %bb.182:                              ;   in Loop: Header=BB0_177 Depth=1
	v_mul_f64 v[6:7], v[10:11], v[10:11]
	v_mul_f64 v[4:5], v[8:9], v[8:9]
                                        ; implicit-def: $vgpr8_vgpr9
; %bb.183:                              ;   in Loop: Header=BB0_177 Depth=1
	s_andn2_saveexec_b64 s[2:3], s[2:3]
	s_cbranch_execz .LBB0_187
; %bb.184:                              ;   in Loop: Header=BB0_177 Depth=1
	v_cmp_ge_f64_e32 vcc, 0, v[8:9]
	s_and_saveexec_b64 s[20:21], vcc
	s_xor_b64 s[20:21], exec, s[20:21]
	s_andn2_saveexec_b64 s[20:21], s[20:21]
; %bb.185:                              ;   in Loop: Header=BB0_177 Depth=1
	v_max_f64 v[4:5], v[4:5], v[6:7]
	v_mov_b64_e32 v[6:7], 0
; %bb.186:                              ;   in Loop: Header=BB0_177 Depth=1
	s_or_b64 exec, exec, s[20:21]
.LBB0_187:                              ;   in Loop: Header=BB0_177 Depth=1
	s_or_b64 exec, exec, s[2:3]
	v_mul_f64 v[8:9], v[14:15], v[0:1]
	v_mul_f64 v[10:11], v[14:15], v[2:3]
	v_min_f64 v[24:25], v[8:9], v[10:11]
	v_max_f64 v[8:9], v[8:9], v[10:11]
	v_add_f64 v[6:7], v[24:25], v[6:7]
	v_add_f64 v[4:5], v[8:9], v[4:5]
	;; [unrolled: 1-line block ×3, first 2 shown]
	v_add_f64 v[4:5], v[4:5], -v[6:7]
	v_cmp_u_f64_e32 vcc, v[8:9], v[8:9]
	v_cmp_ge_f64_e64 s[2:3], s[12:13], v[4:5]
	s_or_b64 s[2:3], vcc, s[2:3]
	s_mov_b64 s[20:21], exec
	s_orn2_b64 s[2:3], s[2:3], exec
.LBB0_188:                              ;   in Loop: Header=BB0_177 Depth=1
	s_or_b64 exec, exec, s[18:19]
                                        ; implicit-def: $vgpr6
                                        ; implicit-def: $vgpr13
	s_and_saveexec_b64 s[18:19], s[2:3]
	s_xor_b64 s[2:3], exec, s[18:19]
	s_cbranch_execz .LBB0_190
; %bb.189:                              ;   in Loop: Header=BB0_177 Depth=1
	v_ashrrev_i32_e32 v19, 31, v18
	v_lshl_add_u64 v[4:5], v[18:19], 4, s[8:9]
	v_add_u32_e32 v6, 0x10000, v18
	global_store_dwordx4 v[4:5], v[0:3], off
	s_andn2_b64 s[20:21], s[20:21], exec
	v_mov_b32_e32 v13, v6
.LBB0_190:                              ;   in Loop: Header=BB0_177 Depth=1
	s_or_b64 exec, exec, s[2:3]
	s_and_b64 s[2:3], s[20:21], exec
	s_andn2_saveexec_b64 s[4:5], s[4:5]
	s_cbranch_execz .LBB0_179
.LBB0_191:                              ;   in Loop: Header=BB0_177 Depth=1
	s_or_b64 s[2:3], s[2:3], exec
	s_or_b64 exec, exec, s[4:5]
	v_add_u32_e32 v19, -1, v35
	s_and_saveexec_b64 s[18:19], s[2:3]
	s_cbranch_execz .LBB0_176
.LBB0_192:                              ;   in Loop: Header=BB0_177 Depth=1
	v_add_f64 v[4:5], v[20:21], -1.0
	v_mul_f64 v[8:9], v[4:5], v[4:5]
	v_cmp_o_f64_e32 vcc, v[4:5], v[4:5]
	v_add_f64 v[4:5], v[0:1], v[0:1]
	v_add_f64 v[6:7], v[2:3], v[2:3]
	v_min_f64 v[10:11], v[4:5], v[6:7]
	v_max_f64 v[4:5], v[4:5], v[6:7]
	v_add_f64 v[10:11], v[16:17], v[10:11]
	v_add_f64 v[26:27], v[16:17], v[4:5]
	v_cndmask_b32_e32 v25, 0, v9, vcc
	v_cndmask_b32_e32 v24, 0, v8, vcc
	v_cmp_ge_f64_e32 vcc, 0, v[10:11]
	v_cmp_le_f64_e64 s[2:3], 0, v[26:27]
	v_fmac_f64_e32 v[24:25], v[14:15], v[20:21]
	v_fmac_f64_e32 v[8:9], v[14:15], v[20:21]
	s_and_b64 s[2:3], vcc, s[2:3]
                                        ; implicit-def: $sgpr4_sgpr5
                                        ; implicit-def: $vgpr30_vgpr31
                                        ; implicit-def: $vgpr28_vgpr29
	s_and_saveexec_b64 s[20:21], s[2:3]
	s_xor_b64 s[20:21], exec, s[20:21]
	s_cbranch_execz .LBB0_228
; %bb.193:                              ;   in Loop: Header=BB0_177 Depth=1
	v_cmp_eq_f64_e64 s[4:5], 0, v[10:11]
	v_cmp_neq_f64_e32 vcc, 0, v[26:27]
	v_cmp_eq_f64_e64 s[2:3], 0, v[26:27]
                                        ; implicit-def: $vgpr30_vgpr31
                                        ; implicit-def: $vgpr28_vgpr29
	s_and_saveexec_b64 s[22:23], s[4:5]
	s_xor_b64 s[22:23], exec, s[22:23]
	s_cbranch_execz .LBB0_205
; %bb.194:                              ;   in Loop: Header=BB0_177 Depth=1
	v_mov_b32_e32 v30, 0
	v_mov_b32_e32 v28, 0
	v_mov_b32_e32 v31, 0x7ff80000
	v_mov_b32_e32 v29, 0x7ff80000
	s_and_saveexec_b64 s[24:25], vcc
	s_cbranch_execz .LBB0_204
; %bb.195:                              ;   in Loop: Header=BB0_177 Depth=1
	v_cmp_neq_f64_e32 vcc, 0, v[24:25]
	v_cmp_neq_f64_e64 s[4:5], 0, v[8:9]
	s_or_b64 s[26:27], s[4:5], vcc
	v_mov_b64_e32 v[30:31], v[24:25]
	v_mov_b64_e32 v[28:29], v[8:9]
	s_and_saveexec_b64 s[4:5], s[26:27]
	s_cbranch_execz .LBB0_203
; %bb.196:                              ;   in Loop: Header=BB0_177 Depth=1
	v_cmp_ngt_f64_e32 vcc, 0, v[8:9]
                                        ; implicit-def: $vgpr30_vgpr31
	s_and_saveexec_b64 s[26:27], vcc
	s_xor_b64 s[26:27], exec, s[26:27]
	s_cbranch_execz .LBB0_200
; %bb.197:                              ;   in Loop: Header=BB0_177 Depth=1
	v_mov_b32_e32 v30, 0
	v_cmp_ngt_f64_e32 vcc, 0, v[24:25]
	v_mov_b32_e32 v31, 0xfff00000
	s_and_saveexec_b64 s[28:29], vcc
	s_cbranch_execz .LBB0_199
; %bb.198:                              ;   in Loop: Header=BB0_177 Depth=1
	v_div_scale_f64 v[4:5], s[34:35], v[26:27], v[26:27], v[24:25]
	v_rcp_f64_e32 v[6:7], v[4:5]
	v_div_scale_f64 v[28:29], vcc, v[24:25], v[26:27], v[24:25]
	v_fma_f64 v[30:31], -v[4:5], v[6:7], 1.0
	v_fmac_f64_e32 v[6:7], v[6:7], v[30:31]
	v_fma_f64 v[30:31], -v[4:5], v[6:7], 1.0
	v_fmac_f64_e32 v[6:7], v[6:7], v[30:31]
	v_mul_f64 v[30:31], v[28:29], v[6:7]
	v_fma_f64 v[4:5], -v[4:5], v[30:31], v[28:29]
	v_div_fmas_f64 v[4:5], v[4:5], v[6:7], v[30:31]
	v_div_fixup_f64 v[30:31], v[4:5], v[26:27], v[24:25]
.LBB0_199:                              ;   in Loop: Header=BB0_177 Depth=1
	s_or_b64 exec, exec, s[28:29]
.LBB0_200:                              ;   in Loop: Header=BB0_177 Depth=1
	s_or_saveexec_b64 s[26:27], s[26:27]
	v_mov_b32_e32 v28, 0
	v_mov_b32_e32 v29, 0x7ff00000
	s_xor_b64 exec, exec, s[26:27]
	s_cbranch_execz .LBB0_202
; %bb.201:                              ;   in Loop: Header=BB0_177 Depth=1
	v_div_scale_f64 v[4:5], s[28:29], v[26:27], v[26:27], v[8:9]
	v_rcp_f64_e32 v[6:7], v[4:5]
	v_div_scale_f64 v[28:29], vcc, v[8:9], v[26:27], v[8:9]
	v_fma_f64 v[30:31], -v[4:5], v[6:7], 1.0
	v_fmac_f64_e32 v[6:7], v[6:7], v[30:31]
	v_fma_f64 v[30:31], -v[4:5], v[6:7], 1.0
	v_fmac_f64_e32 v[6:7], v[6:7], v[30:31]
	v_mul_f64 v[30:31], v[28:29], v[6:7]
	v_fma_f64 v[4:5], -v[4:5], v[30:31], v[28:29]
	v_div_fmas_f64 v[4:5], v[4:5], v[6:7], v[30:31]
	v_mov_b32_e32 v30, 0
	v_div_fixup_f64 v[28:29], v[4:5], v[26:27], v[8:9]
	v_mov_b32_e32 v31, 0xfff00000
.LBB0_202:                              ;   in Loop: Header=BB0_177 Depth=1
	s_or_b64 exec, exec, s[26:27]
.LBB0_203:                              ;   in Loop: Header=BB0_177 Depth=1
	s_or_b64 exec, exec, s[4:5]
.LBB0_204:                              ;   in Loop: Header=BB0_177 Depth=1
	s_or_b64 exec, exec, s[24:25]
.LBB0_205:                              ;   in Loop: Header=BB0_177 Depth=1
	s_or_saveexec_b64 s[22:23], s[22:23]
	s_mov_b64 s[4:5], 0
	s_xor_b64 exec, exec, s[22:23]
	s_cbranch_execz .LBB0_227
; %bb.206:                              ;   in Loop: Header=BB0_177 Depth=1
	v_cmp_neq_f64_e32 vcc, 0, v[24:25]
	v_cmp_neq_f64_e64 s[4:5], 0, v[8:9]
	s_or_b64 s[4:5], s[4:5], vcc
                                        ; implicit-def: $vgpr30_vgpr31
                                        ; implicit-def: $vgpr28_vgpr29
	s_and_saveexec_b64 s[24:25], s[2:3]
	s_xor_b64 s[2:3], exec, s[24:25]
	s_cbranch_execz .LBB0_216
; %bb.207:                              ;   in Loop: Header=BB0_177 Depth=1
	v_mov_b64_e32 v[30:31], v[24:25]
	v_mov_b64_e32 v[28:29], v[8:9]
	s_and_saveexec_b64 s[24:25], s[4:5]
	s_cbranch_execz .LBB0_215
; %bb.208:                              ;   in Loop: Header=BB0_177 Depth=1
	v_cmp_ngt_f64_e32 vcc, 0, v[8:9]
                                        ; implicit-def: $vgpr28_vgpr29
	s_and_saveexec_b64 s[26:27], vcc
	s_xor_b64 s[26:27], exec, s[26:27]
	s_cbranch_execz .LBB0_212
; %bb.209:                              ;   in Loop: Header=BB0_177 Depth=1
	v_mov_b32_e32 v28, 0
	v_cmp_ngt_f64_e32 vcc, 0, v[24:25]
	v_mov_b32_e32 v29, 0x7ff00000
	s_and_saveexec_b64 s[28:29], vcc
	s_cbranch_execz .LBB0_211
; %bb.210:                              ;   in Loop: Header=BB0_177 Depth=1
	v_div_scale_f64 v[4:5], s[34:35], v[10:11], v[10:11], v[24:25]
	v_rcp_f64_e32 v[6:7], v[4:5]
	v_div_scale_f64 v[28:29], vcc, v[24:25], v[10:11], v[24:25]
	v_fma_f64 v[30:31], -v[4:5], v[6:7], 1.0
	v_fmac_f64_e32 v[6:7], v[6:7], v[30:31]
	v_fma_f64 v[30:31], -v[4:5], v[6:7], 1.0
	v_fmac_f64_e32 v[6:7], v[6:7], v[30:31]
	v_mul_f64 v[30:31], v[28:29], v[6:7]
	v_fma_f64 v[4:5], -v[4:5], v[30:31], v[28:29]
	v_div_fmas_f64 v[4:5], v[4:5], v[6:7], v[30:31]
	v_div_fixup_f64 v[28:29], v[4:5], v[10:11], v[24:25]
.LBB0_211:                              ;   in Loop: Header=BB0_177 Depth=1
	s_or_b64 exec, exec, s[28:29]
.LBB0_212:                              ;   in Loop: Header=BB0_177 Depth=1
	s_or_saveexec_b64 s[26:27], s[26:27]
	v_mov_b32_e32 v30, 0
	v_mov_b32_e32 v31, 0xfff00000
	s_xor_b64 exec, exec, s[26:27]
	s_cbranch_execz .LBB0_214
; %bb.213:                              ;   in Loop: Header=BB0_177 Depth=1
	v_div_scale_f64 v[4:5], s[28:29], v[10:11], v[10:11], v[8:9]
	v_rcp_f64_e32 v[6:7], v[4:5]
	v_div_scale_f64 v[28:29], vcc, v[8:9], v[10:11], v[8:9]
	v_fma_f64 v[30:31], -v[4:5], v[6:7], 1.0
	v_fmac_f64_e32 v[6:7], v[6:7], v[30:31]
	v_fma_f64 v[30:31], -v[4:5], v[6:7], 1.0
	v_fmac_f64_e32 v[6:7], v[6:7], v[30:31]
	v_mul_f64 v[30:31], v[28:29], v[6:7]
	v_fma_f64 v[4:5], -v[4:5], v[30:31], v[28:29]
	v_div_fmas_f64 v[4:5], v[4:5], v[6:7], v[30:31]
	v_mov_b32_e32 v28, 0
	v_div_fixup_f64 v[30:31], v[4:5], v[10:11], v[8:9]
	v_mov_b32_e32 v29, 0x7ff00000
.LBB0_214:                              ;   in Loop: Header=BB0_177 Depth=1
	s_or_b64 exec, exec, s[26:27]
.LBB0_215:                              ;   in Loop: Header=BB0_177 Depth=1
	s_or_b64 exec, exec, s[24:25]
.LBB0_216:                              ;   in Loop: Header=BB0_177 Depth=1
	s_or_saveexec_b64 s[2:3], s[2:3]
	s_mov_b64 s[24:25], 0
	s_xor_b64 exec, exec, s[2:3]
	s_cbranch_execz .LBB0_226
; %bb.217:                              ;   in Loop: Header=BB0_177 Depth=1
	s_mov_b64 s[26:27], 0
	v_mov_b64_e32 v[30:31], v[24:25]
	v_mov_b64_e32 v[28:29], v[8:9]
	s_and_saveexec_b64 s[24:25], s[4:5]
	s_cbranch_execz .LBB0_225
; %bb.218:                              ;   in Loop: Header=BB0_177 Depth=1
	v_cmp_ngt_f64_e32 vcc, 0, v[8:9]
                                        ; implicit-def: $sgpr4_sgpr5
                                        ; implicit-def: $vgpr28_vgpr29
	s_and_saveexec_b64 s[26:27], vcc
	s_xor_b64 s[26:27], exec, s[26:27]
	s_cbranch_execz .LBB0_222
; %bb.219:                              ;   in Loop: Header=BB0_177 Depth=1
	v_mov_b32_e32 v28, 0
	v_cmp_ngt_f64_e32 vcc, 0, v[24:25]
	s_mov_b64 s[4:5], 0
	v_mov_b32_e32 v29, 0x7ff00000
	s_and_saveexec_b64 s[28:29], vcc
	s_cbranch_execz .LBB0_221
; %bb.220:                              ;   in Loop: Header=BB0_177 Depth=1
	v_div_scale_f64 v[4:5], s[34:35], v[10:11], v[10:11], v[24:25]
	v_rcp_f64_e32 v[6:7], v[4:5]
	s_mov_b64 s[4:5], exec
	v_fma_f64 v[28:29], -v[4:5], v[6:7], 1.0
	v_fmac_f64_e32 v[6:7], v[6:7], v[28:29]
	v_fma_f64 v[28:29], -v[4:5], v[6:7], 1.0
	v_fmac_f64_e32 v[6:7], v[6:7], v[28:29]
	v_div_scale_f64 v[28:29], vcc, v[24:25], v[10:11], v[24:25]
	v_mul_f64 v[30:31], v[28:29], v[6:7]
	v_fma_f64 v[4:5], -v[4:5], v[30:31], v[28:29]
	s_nop 1
	v_div_fmas_f64 v[4:5], v[4:5], v[6:7], v[30:31]
	v_div_fixup_f64 v[28:29], v[4:5], v[10:11], v[24:25]
.LBB0_221:                              ;   in Loop: Header=BB0_177 Depth=1
	s_or_b64 exec, exec, s[28:29]
.LBB0_222:                              ;   in Loop: Header=BB0_177 Depth=1
	s_andn2_saveexec_b64 s[26:27], s[26:27]
	s_cbranch_execz .LBB0_224
; %bb.223:                              ;   in Loop: Header=BB0_177 Depth=1
	v_div_scale_f64 v[4:5], s[28:29], v[26:27], v[26:27], v[8:9]
	v_rcp_f64_e32 v[6:7], v[4:5]
	v_div_scale_f64 v[28:29], vcc, v[8:9], v[26:27], v[8:9]
	s_or_b64 s[4:5], s[4:5], exec
	v_fma_f64 v[30:31], -v[4:5], v[6:7], 1.0
	v_fmac_f64_e32 v[6:7], v[6:7], v[30:31]
	v_fma_f64 v[30:31], -v[4:5], v[6:7], 1.0
	v_fmac_f64_e32 v[6:7], v[6:7], v[30:31]
	v_mul_f64 v[30:31], v[28:29], v[6:7]
	v_fma_f64 v[4:5], -v[4:5], v[30:31], v[28:29]
	v_div_fmas_f64 v[4:5], v[4:5], v[6:7], v[30:31]
	v_div_fixup_f64 v[28:29], v[4:5], v[26:27], v[8:9]
.LBB0_224:                              ;   in Loop: Header=BB0_177 Depth=1
	s_or_b64 exec, exec, s[26:27]
	v_mov_b32_e32 v30, 0
	v_mov_b32_e32 v31, 0xfff00000
	s_and_b64 s[26:27], s[4:5], exec
.LBB0_225:                              ;   in Loop: Header=BB0_177 Depth=1
	s_or_b64 exec, exec, s[24:25]
	s_and_b64 s[24:25], s[26:27], exec
.LBB0_226:                              ;   in Loop: Header=BB0_177 Depth=1
	s_or_b64 exec, exec, s[2:3]
	s_and_b64 s[4:5], s[24:25], exec
.LBB0_227:                              ;   in Loop: Header=BB0_177 Depth=1
	s_or_b64 exec, exec, s[22:23]
.LBB0_228:                              ;   in Loop: Header=BB0_177 Depth=1
	s_andn2_saveexec_b64 s[20:21], s[20:21]
	s_cbranch_execz .LBB0_234
; %bb.229:                              ;   in Loop: Header=BB0_177 Depth=1
	v_cmp_gt_f64_e32 vcc, 0, v[26:27]
	v_cmp_ngt_f64_e64 s[2:3], 0, v[8:9]
	v_mov_b64_e32 v[4:5], v[26:27]
	v_mov_b64_e32 v[6:7], v[10:11]
	s_and_saveexec_b64 s[22:23], s[2:3]
	s_cbranch_execz .LBB0_233
; %bb.230:                              ;   in Loop: Header=BB0_177 Depth=1
	v_cmp_gt_f64_e64 s[2:3], 0, v[24:25]
	v_mov_b64_e32 v[6:7], v[26:27]
	v_mov_b64_e32 v[4:5], v[10:11]
	s_and_saveexec_b64 s[24:25], s[2:3]
; %bb.231:                              ;   in Loop: Header=BB0_177 Depth=1
	v_cndmask_b32_e32 v7, v11, v27, vcc
	v_cndmask_b32_e32 v6, v10, v26, vcc
	v_mov_b64_e32 v[4:5], v[6:7]
; %bb.232:                              ;   in Loop: Header=BB0_177 Depth=1
	s_or_b64 exec, exec, s[24:25]
.LBB0_233:                              ;   in Loop: Header=BB0_177 Depth=1
	s_or_b64 exec, exec, s[22:23]
	v_cndmask_b32_e32 v29, v25, v9, vcc
	v_cndmask_b32_e32 v28, v24, v8, vcc
	v_div_scale_f64 v[30:31], s[2:3], v[6:7], v[6:7], v[28:29]
	v_rcp_f64_e32 v[38:39], v[30:31]
	v_cndmask_b32_e32 v41, v9, v25, vcc
	v_cndmask_b32_e32 v40, v8, v24, vcc
	s_andn2_b64 s[4:5], s[4:5], exec
	v_fma_f64 v[42:43], -v[30:31], v[38:39], 1.0
	v_fmac_f64_e32 v[38:39], v[38:39], v[42:43]
	v_fma_f64 v[42:43], -v[30:31], v[38:39], 1.0
	v_fmac_f64_e32 v[38:39], v[38:39], v[42:43]
	v_div_scale_f64 v[42:43], vcc, v[28:29], v[6:7], v[28:29]
	v_mul_f64 v[44:45], v[42:43], v[38:39]
	v_fma_f64 v[30:31], -v[30:31], v[44:45], v[42:43]
	v_div_scale_f64 v[42:43], s[2:3], v[4:5], v[4:5], v[40:41]
	v_rcp_f64_e32 v[46:47], v[42:43]
	v_div_fmas_f64 v[30:31], v[30:31], v[38:39], v[44:45]
	v_div_fixup_f64 v[30:31], v[30:31], v[6:7], v[28:29]
	v_fma_f64 v[6:7], -v[42:43], v[46:47], 1.0
	v_fmac_f64_e32 v[46:47], v[46:47], v[6:7]
	v_fma_f64 v[6:7], -v[42:43], v[46:47], 1.0
	v_fmac_f64_e32 v[46:47], v[46:47], v[6:7]
	v_div_scale_f64 v[6:7], vcc, v[40:41], v[4:5], v[40:41]
	v_mul_f64 v[28:29], v[6:7], v[46:47]
	v_fma_f64 v[6:7], -v[42:43], v[28:29], v[6:7]
	s_nop 1
	v_div_fmas_f64 v[6:7], v[6:7], v[46:47], v[28:29]
	v_div_fixup_f64 v[28:29], v[6:7], v[4:5], v[40:41]
.LBB0_234:                              ;   in Loop: Header=BB0_177 Depth=1
	s_or_b64 exec, exec, s[20:21]
	v_mov_b32_e32 v6, 0
	v_mov_b32_e32 v4, 0
	;; [unrolled: 1-line block ×4, first 2 shown]
	s_and_saveexec_b64 s[2:3], s[4:5]
	s_cbranch_execz .LBB0_240
; %bb.235:                              ;   in Loop: Header=BB0_177 Depth=1
	v_cmp_ngt_f64_e32 vcc, 0, v[8:9]
                                        ; implicit-def: $vgpr4_vgpr5
	s_and_saveexec_b64 s[20:21], vcc
	s_xor_b64 s[20:21], exec, s[20:21]
	s_cbranch_execz .LBB0_237
; %bb.236:                              ;   in Loop: Header=BB0_177 Depth=1
	v_div_scale_f64 v[4:5], s[22:23], v[26:27], v[26:27], v[24:25]
	v_rcp_f64_e32 v[6:7], v[4:5]
	v_div_scale_f64 v[8:9], vcc, v[24:25], v[26:27], v[24:25]
	v_fma_f64 v[10:11], -v[4:5], v[6:7], 1.0
	v_fmac_f64_e32 v[6:7], v[6:7], v[10:11]
	v_fma_f64 v[10:11], -v[4:5], v[6:7], 1.0
	v_fmac_f64_e32 v[6:7], v[6:7], v[10:11]
	v_mul_f64 v[10:11], v[8:9], v[6:7]
	v_fma_f64 v[4:5], -v[4:5], v[10:11], v[8:9]
	v_div_fmas_f64 v[4:5], v[4:5], v[6:7], v[10:11]
	v_div_fixup_f64 v[4:5], v[4:5], v[26:27], v[24:25]
                                        ; implicit-def: $vgpr10_vgpr11
                                        ; implicit-def: $vgpr8_vgpr9
.LBB0_237:                              ;   in Loop: Header=BB0_177 Depth=1
	s_andn2_saveexec_b64 s[20:21], s[20:21]
	s_cbranch_execz .LBB0_239
; %bb.238:                              ;   in Loop: Header=BB0_177 Depth=1
	v_div_scale_f64 v[4:5], s[22:23], v[10:11], v[10:11], v[8:9]
	v_rcp_f64_e32 v[6:7], v[4:5]
	v_div_scale_f64 v[24:25], vcc, v[8:9], v[10:11], v[8:9]
	v_fma_f64 v[26:27], -v[4:5], v[6:7], 1.0
	v_fmac_f64_e32 v[6:7], v[6:7], v[26:27]
	v_fma_f64 v[26:27], -v[4:5], v[6:7], 1.0
	v_fmac_f64_e32 v[6:7], v[6:7], v[26:27]
	v_mul_f64 v[26:27], v[24:25], v[6:7]
	v_fma_f64 v[4:5], -v[4:5], v[26:27], v[24:25]
	v_div_fmas_f64 v[4:5], v[4:5], v[6:7], v[26:27]
	v_div_fixup_f64 v[4:5], v[4:5], v[10:11], v[8:9]
.LBB0_239:                              ;   in Loop: Header=BB0_177 Depth=1
	s_or_b64 exec, exec, s[20:21]
	v_add_f64 v[6:7], v[20:21], s[14:15]
	v_max_f64 v[8:9], v[0:1], v[0:1]
	v_add_f64 v[4:5], v[20:21], -v[4:5]
	v_max_f64 v[6:7], v[6:7], v[8:9]
	v_max_f64 v[8:9], v[2:3], v[2:3]
	v_min_f64 v[8:9], v[4:5], v[8:9]
	v_cmp_nle_f64_e32 vcc, v[6:7], v[8:9]
	s_nop 1
	v_cndmask_b32_e32 v5, v7, v33, vcc
	v_cndmask_b32_e64 v4, v6, 0, vcc
	v_cndmask_b32_e32 v7, v9, v33, vcc
	v_cndmask_b32_e64 v6, v8, 0, vcc
.LBB0_240:                              ;   in Loop: Header=BB0_177 Depth=1
	s_or_b64 exec, exec, s[2:3]
	v_add_f64 v[8:9], v[20:21], -v[28:29]
	v_max_f64 v[24:25], v[0:1], v[0:1]
	v_add_f64 v[10:11], v[20:21], -v[30:31]
	v_max_f64 v[8:9], v[8:9], v[24:25]
	v_max_f64 v[24:25], v[2:3], v[2:3]
	v_min_f64 v[10:11], v[10:11], v[24:25]
	v_cmp_nle_f64_e32 vcc, v[8:9], v[10:11]
	v_mul_f64 v[22:23], v[22:23], s[16:17]
	v_cndmask_b32_e64 v25, v23, 0, s[0:1]
	v_cndmask_b32_e32 v9, v9, v33, vcc
	v_cndmask_b32_e64 v8, v8, 0, vcc
	v_cndmask_b32_e32 v11, v11, v33, vcc
	v_cndmask_b32_e64 v10, v10, 0, vcc
	v_cndmask_b32_e64 v24, v22, 0, s[0:1]
	v_add_f64 v[22:23], v[8:9], v[10:11]
	v_add_f64 v[26:27], v[10:11], -v[8:9]
	v_cmp_o_f64_e32 vcc, v[22:23], v[22:23]
	v_cmp_gt_f64_e64 s[0:1], v[26:27], v[24:25]
	s_and_b64 s[2:3], vcc, s[0:1]
	s_xor_b64 s[0:1], s[2:3], -1
	s_and_saveexec_b64 s[20:21], s[0:1]
	s_cbranch_execnz .LBB0_246
; %bb.241:                              ;   in Loop: Header=BB0_177 Depth=1
	s_or_b64 exec, exec, s[20:21]
	s_and_saveexec_b64 s[0:1], s[2:3]
	s_cbranch_execnz .LBB0_247
.LBB0_242:                              ;   in Loop: Header=BB0_177 Depth=1
	s_or_b64 exec, exec, s[0:1]
	v_cmp_o_f64_e32 vcc, v[22:23], v[22:23]
	s_and_saveexec_b64 s[0:1], vcc
	s_cbranch_execz .LBB0_244
.LBB0_243:                              ;   in Loop: Header=BB0_177 Depth=1
	v_mov_b32_e32 v19, v35
	scratch_store_dwordx4 v36, v[8:11], off
.LBB0_244:                              ;   in Loop: Header=BB0_177 Depth=1
	s_or_b64 exec, exec, s[0:1]
	v_add_f64 v[0:1], v[4:5], v[6:7]
	v_cmp_o_f64_e32 vcc, v[0:1], v[0:1]
	s_and_b64 s[2:3], vcc, s[4:5]
	s_and_saveexec_b64 s[0:1], s[2:3]
	s_cbranch_execz .LBB0_175
; %bb.245:                              ;   in Loop: Header=BB0_177 Depth=1
	v_add_u32_e32 v0, 1, v19
	v_lshlrev_b32_e32 v1, 4, v19
	v_add3_u32 v1, s30, v1, 16
	v_mov_b32_e32 v19, v0
	scratch_store_dwordx4 v1, v[4:7], off
	s_branch .LBB0_175
.LBB0_246:                              ;   in Loop: Header=BB0_177 Depth=1
	v_add_f64 v[26:27], v[4:5], v[6:7]
	v_cmp_o_f64_e32 vcc, v[26:27], v[26:27]
	v_add_f64 v[26:27], v[6:7], -v[4:5]
	v_cmp_gt_f64_e64 s[0:1], v[26:27], v[24:25]
	s_and_b64 s[0:1], vcc, s[0:1]
	s_andn2_b64 s[2:3], s[2:3], exec
	s_and_b64 s[0:1], s[0:1], exec
	s_or_b64 s[2:3], s[2:3], s[0:1]
	s_or_b64 exec, exec, s[20:21]
	s_and_saveexec_b64 s[0:1], s[2:3]
	s_cbranch_execz .LBB0_242
.LBB0_247:                              ;   in Loop: Header=BB0_177 Depth=1
	v_add_f64 v[22:23], v[0:1], v[20:21]
	s_or_b64 s[4:5], s[4:5], exec
	v_mov_b64_e32 v[4:5], v[20:21]
	v_mov_b64_e32 v[6:7], v[2:3]
	;; [unrolled: 1-line block ×4, first 2 shown]
	s_or_b64 exec, exec, s[0:1]
	v_cmp_o_f64_e32 vcc, v[22:23], v[22:23]
	s_and_saveexec_b64 s[0:1], vcc
	s_cbranch_execnz .LBB0_243
	s_branch .LBB0_244
.LBB0_248:
	s_or_b64 exec, exec, s[6:7]
.LBB0_249:
	s_waitcnt vmcnt(0)
	v_ashrrev_i32_e32 v2, 31, v13
	v_mov_b32_e32 v0, s10
	v_mov_b32_e32 v1, s11
	v_add_u32_sdwa v2, v13, v2 dst_sel:DWORD dst_unused:UNUSED_PAD src0_sel:DWORD src1_sel:WORD_1
	v_ashrrev_i32_e32 v13, 31, v12
	v_ashrrev_i32_e32 v2, 16, v2
	v_lshl_add_u64 v[0:1], v[12:13], 2, v[0:1]
	global_store_dword v[0:1], v2, off
	s_endpgm
	.section	.rodata,"a",@progbits
	.p2align	6, 0x0
	.amdhsa_kernel _Z20test_interval_newtonIdEvP12interval_gpuIT_EPiS2_i
		.amdhsa_group_segment_fixed_size 0
		.amdhsa_private_segment_fixed_size 2064
		.amdhsa_kernarg_size 36
		.amdhsa_user_sgpr_count 2
		.amdhsa_user_sgpr_dispatch_ptr 0
		.amdhsa_user_sgpr_queue_ptr 0
		.amdhsa_user_sgpr_kernarg_segment_ptr 1
		.amdhsa_user_sgpr_dispatch_id 0
		.amdhsa_user_sgpr_kernarg_preload_length 0
		.amdhsa_user_sgpr_kernarg_preload_offset 0
		.amdhsa_user_sgpr_private_segment_size 0
		.amdhsa_uses_dynamic_stack 0
		.amdhsa_enable_private_segment 1
		.amdhsa_system_sgpr_workgroup_id_x 1
		.amdhsa_system_sgpr_workgroup_id_y 0
		.amdhsa_system_sgpr_workgroup_id_z 0
		.amdhsa_system_sgpr_workgroup_info 0
		.amdhsa_system_vgpr_workitem_id 0
		.amdhsa_next_free_vgpr 50
		.amdhsa_next_free_sgpr 46
		.amdhsa_accum_offset 52
		.amdhsa_reserve_vcc 1
		.amdhsa_float_round_mode_32 0
		.amdhsa_float_round_mode_16_64 0
		.amdhsa_float_denorm_mode_32 3
		.amdhsa_float_denorm_mode_16_64 3
		.amdhsa_dx10_clamp 1
		.amdhsa_ieee_mode 1
		.amdhsa_fp16_overflow 0
		.amdhsa_tg_split 0
		.amdhsa_exception_fp_ieee_invalid_op 0
		.amdhsa_exception_fp_denorm_src 0
		.amdhsa_exception_fp_ieee_div_zero 0
		.amdhsa_exception_fp_ieee_overflow 0
		.amdhsa_exception_fp_ieee_underflow 0
		.amdhsa_exception_fp_ieee_inexact 0
		.amdhsa_exception_int_div_zero 0
	.end_amdhsa_kernel
	.section	.text._Z20test_interval_newtonIdEvP12interval_gpuIT_EPiS2_i,"axG",@progbits,_Z20test_interval_newtonIdEvP12interval_gpuIT_EPiS2_i,comdat
.Lfunc_end0:
	.size	_Z20test_interval_newtonIdEvP12interval_gpuIT_EPiS2_i, .Lfunc_end0-_Z20test_interval_newtonIdEvP12interval_gpuIT_EPiS2_i
                                        ; -- End function
	.set _Z20test_interval_newtonIdEvP12interval_gpuIT_EPiS2_i.num_vgpr, 50
	.set _Z20test_interval_newtonIdEvP12interval_gpuIT_EPiS2_i.num_agpr, 0
	.set _Z20test_interval_newtonIdEvP12interval_gpuIT_EPiS2_i.numbered_sgpr, 46
	.set _Z20test_interval_newtonIdEvP12interval_gpuIT_EPiS2_i.num_named_barrier, 0
	.set _Z20test_interval_newtonIdEvP12interval_gpuIT_EPiS2_i.private_seg_size, 2064
	.set _Z20test_interval_newtonIdEvP12interval_gpuIT_EPiS2_i.uses_vcc, 1
	.set _Z20test_interval_newtonIdEvP12interval_gpuIT_EPiS2_i.uses_flat_scratch, 0
	.set _Z20test_interval_newtonIdEvP12interval_gpuIT_EPiS2_i.has_dyn_sized_stack, 0
	.set _Z20test_interval_newtonIdEvP12interval_gpuIT_EPiS2_i.has_recursion, 0
	.set _Z20test_interval_newtonIdEvP12interval_gpuIT_EPiS2_i.has_indirect_call, 0
	.section	.AMDGPU.csdata,"",@progbits
; Kernel info:
; codeLenInByte = 8148
; TotalNumSgprs: 52
; NumVgprs: 50
; NumAgprs: 0
; TotalNumVgprs: 50
; ScratchSize: 2064
; MemoryBound: 0
; FloatMode: 240
; IeeeMode: 1
; LDSByteSize: 0 bytes/workgroup (compile time only)
; SGPRBlocks: 6
; VGPRBlocks: 6
; NumSGPRsForWavesPerEU: 52
; NumVGPRsForWavesPerEU: 50
; AccumOffset: 52
; Occupancy: 8
; WaveLimiterHint : 0
; COMPUTE_PGM_RSRC2:SCRATCH_EN: 1
; COMPUTE_PGM_RSRC2:USER_SGPR: 2
; COMPUTE_PGM_RSRC2:TRAP_HANDLER: 0
; COMPUTE_PGM_RSRC2:TGID_X_EN: 1
; COMPUTE_PGM_RSRC2:TGID_Y_EN: 0
; COMPUTE_PGM_RSRC2:TGID_Z_EN: 0
; COMPUTE_PGM_RSRC2:TIDIG_COMP_CNT: 0
; COMPUTE_PGM_RSRC3_GFX90A:ACCUM_OFFSET: 12
; COMPUTE_PGM_RSRC3_GFX90A:TG_SPLIT: 0
	.section	.AMDGPU.gpr_maximums,"",@progbits
	.set amdgpu.max_num_vgpr, 0
	.set amdgpu.max_num_agpr, 0
	.set amdgpu.max_num_sgpr, 0
	.section	.AMDGPU.csdata,"",@progbits
	.type	__hip_cuid_44140084c410f9f1,@object ; @__hip_cuid_44140084c410f9f1
	.section	.bss,"aw",@nobits
	.globl	__hip_cuid_44140084c410f9f1
__hip_cuid_44140084c410f9f1:
	.byte	0                               ; 0x0
	.size	__hip_cuid_44140084c410f9f1, 1

	.ident	"AMD clang version 22.0.0git (https://github.com/RadeonOpenCompute/llvm-project roc-7.2.4 26084 f58b06dce1f9c15707c5f808fd002e18c2accf7e)"
	.section	".note.GNU-stack","",@progbits
	.addrsig
	.addrsig_sym __hip_cuid_44140084c410f9f1
	.amdgpu_metadata
---
amdhsa.kernels:
  - .agpr_count:     0
    .args:
      - .address_space:  global
        .offset:         0
        .size:           8
        .value_kind:     global_buffer
      - .address_space:  global
        .offset:         8
        .size:           8
        .value_kind:     global_buffer
      - .offset:         16
        .size:           16
        .value_kind:     by_value
      - .offset:         32
        .size:           4
        .value_kind:     by_value
    .group_segment_fixed_size: 0
    .kernarg_segment_align: 8
    .kernarg_segment_size: 36
    .language:       OpenCL C
    .language_version:
      - 2
      - 0
    .max_flat_workgroup_size: 1024
    .name:           _Z20test_interval_newtonIdEvP12interval_gpuIT_EPiS2_i
    .private_segment_fixed_size: 2064
    .sgpr_count:     52
    .sgpr_spill_count: 0
    .symbol:         _Z20test_interval_newtonIdEvP12interval_gpuIT_EPiS2_i.kd
    .uniform_work_group_size: 1
    .uses_dynamic_stack: false
    .vgpr_count:     50
    .vgpr_spill_count: 0
    .wavefront_size: 64
amdhsa.target:   amdgcn-amd-amdhsa--gfx950
amdhsa.version:
  - 1
  - 2
...

	.end_amdgpu_metadata
